;; amdgpu-corpus repo=ROCm/rocFFT kind=compiled arch=gfx906 opt=O3
	.text
	.amdgcn_target "amdgcn-amd-amdhsa--gfx906"
	.amdhsa_code_object_version 6
	.protected	fft_rtc_fwd_len1782_factors_11_3_3_3_3_2_wgs_99_tpt_99_halfLds_half_op_CI_CI_unitstride_sbrr_dirReg ; -- Begin function fft_rtc_fwd_len1782_factors_11_3_3_3_3_2_wgs_99_tpt_99_halfLds_half_op_CI_CI_unitstride_sbrr_dirReg
	.globl	fft_rtc_fwd_len1782_factors_11_3_3_3_3_2_wgs_99_tpt_99_halfLds_half_op_CI_CI_unitstride_sbrr_dirReg
	.p2align	8
	.type	fft_rtc_fwd_len1782_factors_11_3_3_3_3_2_wgs_99_tpt_99_halfLds_half_op_CI_CI_unitstride_sbrr_dirReg,@function
fft_rtc_fwd_len1782_factors_11_3_3_3_3_2_wgs_99_tpt_99_halfLds_half_op_CI_CI_unitstride_sbrr_dirReg: ; @fft_rtc_fwd_len1782_factors_11_3_3_3_3_2_wgs_99_tpt_99_halfLds_half_op_CI_CI_unitstride_sbrr_dirReg
; %bb.0:
	s_load_dwordx4 s[8:11], s[4:5], 0x58
	s_load_dwordx4 s[12:15], s[4:5], 0x0
	;; [unrolled: 1-line block ×3, first 2 shown]
	v_mul_u32_u24_e32 v1, 0x296, v0
	v_mov_b32_e32 v3, 0
	v_mov_b32_e32 v7, 0
	s_waitcnt lgkmcnt(0)
	v_cmp_lt_u64_e64 s[0:1], s[14:15], 2
	v_add_u32_sdwa v9, s6, v1 dst_sel:DWORD dst_unused:UNUSED_PAD src0_sel:DWORD src1_sel:WORD_1
	v_mov_b32_e32 v10, v3
	s_and_b64 vcc, exec, s[0:1]
	v_mov_b32_e32 v8, 0
	s_cbranch_vccnz .LBB0_8
; %bb.1:
	s_load_dwordx2 s[0:1], s[4:5], 0x10
	s_add_u32 s2, s18, 8
	s_addc_u32 s3, s19, 0
	s_add_u32 s6, s16, 8
	s_addc_u32 s7, s17, 0
	v_mov_b32_e32 v7, 0
	s_waitcnt lgkmcnt(0)
	s_add_u32 s20, s0, 8
	v_mov_b32_e32 v8, 0
	v_mov_b32_e32 v1, v7
	s_addc_u32 s21, s1, 0
	s_mov_b64 s[22:23], 1
	v_mov_b32_e32 v2, v8
.LBB0_2:                                ; =>This Inner Loop Header: Depth=1
	s_load_dwordx2 s[24:25], s[20:21], 0x0
                                        ; implicit-def: $vgpr5_vgpr6
	s_waitcnt lgkmcnt(0)
	v_or_b32_e32 v4, s25, v10
	v_cmp_ne_u64_e32 vcc, 0, v[3:4]
	s_and_saveexec_b64 s[0:1], vcc
	s_xor_b64 s[26:27], exec, s[0:1]
	s_cbranch_execz .LBB0_4
; %bb.3:                                ;   in Loop: Header=BB0_2 Depth=1
	v_cvt_f32_u32_e32 v4, s24
	v_cvt_f32_u32_e32 v5, s25
	s_sub_u32 s0, 0, s24
	s_subb_u32 s1, 0, s25
	v_mac_f32_e32 v4, 0x4f800000, v5
	v_rcp_f32_e32 v4, v4
	v_mul_f32_e32 v4, 0x5f7ffffc, v4
	v_mul_f32_e32 v5, 0x2f800000, v4
	v_trunc_f32_e32 v5, v5
	v_mac_f32_e32 v4, 0xcf800000, v5
	v_cvt_u32_f32_e32 v5, v5
	v_cvt_u32_f32_e32 v4, v4
	v_mul_lo_u32 v6, s0, v5
	v_mul_hi_u32 v11, s0, v4
	v_mul_lo_u32 v13, s1, v4
	v_mul_lo_u32 v12, s0, v4
	v_add_u32_e32 v6, v11, v6
	v_add_u32_e32 v6, v6, v13
	v_mul_hi_u32 v11, v4, v12
	v_mul_lo_u32 v13, v4, v6
	v_mul_hi_u32 v15, v4, v6
	v_mul_hi_u32 v14, v5, v12
	v_mul_lo_u32 v12, v5, v12
	v_mul_hi_u32 v16, v5, v6
	v_add_co_u32_e32 v11, vcc, v11, v13
	v_addc_co_u32_e32 v13, vcc, 0, v15, vcc
	v_mul_lo_u32 v6, v5, v6
	v_add_co_u32_e32 v11, vcc, v11, v12
	v_addc_co_u32_e32 v11, vcc, v13, v14, vcc
	v_addc_co_u32_e32 v12, vcc, 0, v16, vcc
	v_add_co_u32_e32 v6, vcc, v11, v6
	v_addc_co_u32_e32 v11, vcc, 0, v12, vcc
	v_add_co_u32_e32 v4, vcc, v4, v6
	v_addc_co_u32_e32 v5, vcc, v5, v11, vcc
	v_mul_lo_u32 v6, s0, v5
	v_mul_hi_u32 v11, s0, v4
	v_mul_lo_u32 v12, s1, v4
	v_mul_lo_u32 v13, s0, v4
	v_add_u32_e32 v6, v11, v6
	v_add_u32_e32 v6, v6, v12
	v_mul_lo_u32 v14, v4, v6
	v_mul_hi_u32 v15, v4, v13
	v_mul_hi_u32 v16, v4, v6
	v_mul_hi_u32 v12, v5, v13
	v_mul_lo_u32 v13, v5, v13
	v_mul_hi_u32 v11, v5, v6
	v_add_co_u32_e32 v14, vcc, v15, v14
	v_addc_co_u32_e32 v15, vcc, 0, v16, vcc
	v_mul_lo_u32 v6, v5, v6
	v_add_co_u32_e32 v13, vcc, v14, v13
	v_addc_co_u32_e32 v12, vcc, v15, v12, vcc
	v_addc_co_u32_e32 v11, vcc, 0, v11, vcc
	v_add_co_u32_e32 v6, vcc, v12, v6
	v_addc_co_u32_e32 v11, vcc, 0, v11, vcc
	v_add_co_u32_e32 v6, vcc, v4, v6
	v_addc_co_u32_e32 v11, vcc, v5, v11, vcc
	v_mad_u64_u32 v[4:5], s[0:1], v9, v11, 0
	v_mul_hi_u32 v12, v9, v6
	v_add_co_u32_e32 v13, vcc, v12, v4
	v_addc_co_u32_e32 v14, vcc, 0, v5, vcc
	v_mad_u64_u32 v[4:5], s[0:1], v10, v6, 0
	v_mad_u64_u32 v[11:12], s[0:1], v10, v11, 0
	v_add_co_u32_e32 v4, vcc, v13, v4
	v_addc_co_u32_e32 v4, vcc, v14, v5, vcc
	v_addc_co_u32_e32 v5, vcc, 0, v12, vcc
	v_add_co_u32_e32 v11, vcc, v4, v11
	v_addc_co_u32_e32 v6, vcc, 0, v5, vcc
	v_mul_lo_u32 v12, s25, v11
	v_mul_lo_u32 v13, s24, v6
	v_mad_u64_u32 v[4:5], s[0:1], s24, v11, 0
	v_add3_u32 v5, v5, v13, v12
	v_sub_u32_e32 v12, v10, v5
	v_mov_b32_e32 v13, s25
	v_sub_co_u32_e32 v4, vcc, v9, v4
	v_subb_co_u32_e64 v12, s[0:1], v12, v13, vcc
	v_subrev_co_u32_e64 v13, s[0:1], s24, v4
	v_subbrev_co_u32_e64 v12, s[0:1], 0, v12, s[0:1]
	v_cmp_le_u32_e64 s[0:1], s25, v12
	v_cndmask_b32_e64 v14, 0, -1, s[0:1]
	v_cmp_le_u32_e64 s[0:1], s24, v13
	v_cndmask_b32_e64 v13, 0, -1, s[0:1]
	v_cmp_eq_u32_e64 s[0:1], s25, v12
	v_cndmask_b32_e64 v12, v14, v13, s[0:1]
	v_add_co_u32_e64 v13, s[0:1], 2, v11
	v_addc_co_u32_e64 v14, s[0:1], 0, v6, s[0:1]
	v_add_co_u32_e64 v15, s[0:1], 1, v11
	v_addc_co_u32_e64 v16, s[0:1], 0, v6, s[0:1]
	v_subb_co_u32_e32 v5, vcc, v10, v5, vcc
	v_cmp_ne_u32_e64 s[0:1], 0, v12
	v_cmp_le_u32_e32 vcc, s25, v5
	v_cndmask_b32_e64 v12, v16, v14, s[0:1]
	v_cndmask_b32_e64 v14, 0, -1, vcc
	v_cmp_le_u32_e32 vcc, s24, v4
	v_cndmask_b32_e64 v4, 0, -1, vcc
	v_cmp_eq_u32_e32 vcc, s25, v5
	v_cndmask_b32_e32 v4, v14, v4, vcc
	v_cmp_ne_u32_e32 vcc, 0, v4
	v_cndmask_b32_e64 v4, v15, v13, s[0:1]
	v_cndmask_b32_e32 v6, v6, v12, vcc
	v_cndmask_b32_e32 v5, v11, v4, vcc
.LBB0_4:                                ;   in Loop: Header=BB0_2 Depth=1
	s_andn2_saveexec_b64 s[0:1], s[26:27]
	s_cbranch_execz .LBB0_6
; %bb.5:                                ;   in Loop: Header=BB0_2 Depth=1
	v_cvt_f32_u32_e32 v4, s24
	s_sub_i32 s26, 0, s24
	v_rcp_iflag_f32_e32 v4, v4
	v_mul_f32_e32 v4, 0x4f7ffffe, v4
	v_cvt_u32_f32_e32 v4, v4
	v_mul_lo_u32 v5, s26, v4
	v_mul_hi_u32 v5, v4, v5
	v_add_u32_e32 v4, v4, v5
	v_mul_hi_u32 v4, v9, v4
	v_mul_lo_u32 v5, v4, s24
	v_add_u32_e32 v6, 1, v4
	v_sub_u32_e32 v5, v9, v5
	v_subrev_u32_e32 v11, s24, v5
	v_cmp_le_u32_e32 vcc, s24, v5
	v_cndmask_b32_e32 v5, v5, v11, vcc
	v_cndmask_b32_e32 v4, v4, v6, vcc
	v_add_u32_e32 v6, 1, v4
	v_cmp_le_u32_e32 vcc, s24, v5
	v_cndmask_b32_e32 v5, v4, v6, vcc
	v_mov_b32_e32 v6, v3
.LBB0_6:                                ;   in Loop: Header=BB0_2 Depth=1
	s_or_b64 exec, exec, s[0:1]
	v_mul_lo_u32 v4, v6, s24
	v_mul_lo_u32 v13, v5, s25
	v_mad_u64_u32 v[11:12], s[0:1], v5, s24, 0
	s_load_dwordx2 s[0:1], s[6:7], 0x0
	s_load_dwordx2 s[24:25], s[2:3], 0x0
	v_add3_u32 v4, v12, v13, v4
	v_sub_co_u32_e32 v9, vcc, v9, v11
	v_subb_co_u32_e32 v4, vcc, v10, v4, vcc
	s_waitcnt lgkmcnt(0)
	v_mul_lo_u32 v10, s0, v4
	v_mul_lo_u32 v11, s1, v9
	v_mad_u64_u32 v[7:8], s[0:1], s0, v9, v[7:8]
	s_add_u32 s22, s22, 1
	s_addc_u32 s23, s23, 0
	s_add_u32 s2, s2, 8
	v_mul_lo_u32 v4, s24, v4
	v_mul_lo_u32 v12, s25, v9
	v_mad_u64_u32 v[1:2], s[0:1], s24, v9, v[1:2]
	v_add3_u32 v8, v11, v8, v10
	s_addc_u32 s3, s3, 0
	v_mov_b32_e32 v9, s14
	s_add_u32 s6, s6, 8
	v_mov_b32_e32 v10, s15
	s_addc_u32 s7, s7, 0
	v_cmp_ge_u64_e32 vcc, s[22:23], v[9:10]
	s_add_u32 s20, s20, 8
	v_add3_u32 v2, v12, v2, v4
	s_addc_u32 s21, s21, 0
	s_cbranch_vccnz .LBB0_9
; %bb.7:                                ;   in Loop: Header=BB0_2 Depth=1
	v_mov_b32_e32 v10, v6
	v_mov_b32_e32 v9, v5
	s_branch .LBB0_2
.LBB0_8:
	v_mov_b32_e32 v1, v7
	v_mov_b32_e32 v5, v9
	;; [unrolled: 1-line block ×4, first 2 shown]
.LBB0_9:
	s_load_dwordx2 s[4:5], s[4:5], 0x28
	s_lshl_b64 s[6:7], s[14:15], 3
	s_add_u32 s2, s18, s6
	s_addc_u32 s3, s19, s7
                                        ; implicit-def: $sgpr14
                                        ; implicit-def: $vgpr3
	s_waitcnt lgkmcnt(0)
	v_cmp_gt_u64_e64 s[0:1], s[4:5], v[5:6]
	v_cmp_le_u64_e32 vcc, s[4:5], v[5:6]
	s_and_saveexec_b64 s[4:5], vcc
	s_xor_b64 s[4:5], exec, s[4:5]
; %bb.10:
	s_mov_b32 s14, 0x295fad5
	v_mul_hi_u32 v3, v0, s14
	s_mov_b32 s14, 0
                                        ; implicit-def: $vgpr7_vgpr8
	v_mul_u32_u24_e32 v3, 0x63, v3
	v_sub_u32_e32 v3, v0, v3
                                        ; implicit-def: $vgpr0
; %bb.11:
	s_or_saveexec_b64 s[4:5], s[4:5]
	s_load_dwordx2 s[2:3], s[2:3], 0x0
	v_mov_b32_e32 v11, s14
	v_mov_b32_e32 v41, s14
                                        ; implicit-def: $vgpr9
                                        ; implicit-def: $vgpr49
                                        ; implicit-def: $vgpr46
                                        ; implicit-def: $vgpr36
                                        ; implicit-def: $vgpr45
                                        ; implicit-def: $vgpr35
                                        ; implicit-def: $vgpr43
                                        ; implicit-def: $vgpr34
                                        ; implicit-def: $vgpr42
                                        ; implicit-def: $vgpr32
                                        ; implicit-def: $vgpr10
                                        ; implicit-def: $vgpr4
                                        ; implicit-def: $vgpr44
                                        ; implicit-def: $vgpr33
                                        ; implicit-def: $vgpr47
                                        ; implicit-def: $vgpr37
                                        ; implicit-def: $vgpr48
                                        ; implicit-def: $vgpr38
                                        ; implicit-def: $vgpr50
                                        ; implicit-def: $vgpr39
                                        ; implicit-def: $vgpr51
                                        ; implicit-def: $vgpr40
                                        ; implicit-def: $vgpr29
                                        ; implicit-def: $vgpr17
                                        ; implicit-def: $vgpr27
                                        ; implicit-def: $vgpr16
                                        ; implicit-def: $vgpr25
                                        ; implicit-def: $vgpr15
                                        ; implicit-def: $vgpr22
                                        ; implicit-def: $vgpr13
                                        ; implicit-def: $vgpr20
                                        ; implicit-def: $vgpr12
                                        ; implicit-def: $vgpr21
                                        ; implicit-def: $vgpr14
                                        ; implicit-def: $vgpr31
                                        ; implicit-def: $vgpr28
                                        ; implicit-def: $vgpr30
                                        ; implicit-def: $vgpr23
                                        ; implicit-def: $vgpr26
                                        ; implicit-def: $vgpr19
                                        ; implicit-def: $vgpr24
                                        ; implicit-def: $vgpr18
	s_xor_b64 exec, exec, s[4:5]
	s_cbranch_execz .LBB0_15
; %bb.12:
	s_add_u32 s6, s16, s6
	s_addc_u32 s7, s17, s7
	s_load_dwordx2 s[6:7], s[6:7], 0x0
	s_mov_b32 s14, 0x295fad5
	v_mul_hi_u32 v3, v0, s14
	v_lshlrev_b64 v[7:8], 2, v[7:8]
	v_mov_b32_e32 v41, 0
	s_waitcnt lgkmcnt(0)
	v_mul_lo_u32 v4, s7, v5
	v_mul_lo_u32 v11, s6, v6
	v_mad_u64_u32 v[9:10], s[6:7], s6, v5, 0
	v_mul_u32_u24_e32 v3, 0x63, v3
	v_sub_u32_e32 v3, v0, v3
	v_add3_u32 v10, v10, v11, v4
	v_lshlrev_b64 v[9:10], 2, v[9:10]
	v_mov_b32_e32 v0, s9
	v_add_co_u32_e32 v4, vcc, s8, v9
	v_addc_co_u32_e32 v0, vcc, v0, v10, vcc
	v_add_co_u32_e32 v4, vcc, v4, v7
	v_addc_co_u32_e32 v0, vcc, v0, v8, vcc
	v_lshlrev_b32_e32 v7, 2, v3
	v_add_co_u32_e32 v7, vcc, v4, v7
	v_addc_co_u32_e32 v8, vcc, 0, v0, vcc
	s_movk_i32 s6, 0x1000
	v_add_co_u32_e32 v9, vcc, s6, v7
	v_addc_co_u32_e32 v10, vcc, 0, v8, vcc
	global_load_dword v49, v[7:8], off
	global_load_dword v36, v[7:8], off offset:648
	global_load_dword v35, v[7:8], off offset:1296
	;; [unrolled: 1-line block ×10, first 2 shown]
	v_cmp_gt_u32_e32 vcc, 63, v3
	v_mov_b32_e32 v11, 0
                                        ; implicit-def: $vgpr18
                                        ; implicit-def: $vgpr24
                                        ; implicit-def: $vgpr19
                                        ; implicit-def: $vgpr26
                                        ; implicit-def: $vgpr23
                                        ; implicit-def: $vgpr30
                                        ; implicit-def: $vgpr28
                                        ; implicit-def: $vgpr31
                                        ; implicit-def: $vgpr14
                                        ; implicit-def: $vgpr21
                                        ; implicit-def: $vgpr12
                                        ; implicit-def: $vgpr20
                                        ; implicit-def: $vgpr13
                                        ; implicit-def: $vgpr22
                                        ; implicit-def: $vgpr15
                                        ; implicit-def: $vgpr25
                                        ; implicit-def: $vgpr16
                                        ; implicit-def: $vgpr27
                                        ; implicit-def: $vgpr17
                                        ; implicit-def: $vgpr29
	s_and_saveexec_b64 s[6:7], vcc
	s_cbranch_execz .LBB0_14
; %bb.13:
	global_load_dword v41, v[7:8], off offset:396
	global_load_dword v17, v[7:8], off offset:1044
	;; [unrolled: 1-line block ×11, first 2 shown]
	s_waitcnt vmcnt(10)
	v_lshrrev_b32_e32 v11, 16, v41
	s_waitcnt vmcnt(9)
	v_lshrrev_b32_e32 v29, 16, v17
	;; [unrolled: 2-line block ×11, first 2 shown]
.LBB0_14:
	s_or_b64 exec, exec, s[6:7]
	s_waitcnt vmcnt(10)
	v_lshrrev_b32_e32 v9, 16, v49
	s_waitcnt vmcnt(9)
	v_lshrrev_b32_e32 v46, 16, v36
	;; [unrolled: 2-line block ×11, first 2 shown]
.LBB0_15:
	s_or_b64 exec, exec, s[4:5]
	v_sub_f16_e32 v8, v46, v51
	s_mov_b32 s18, 0xbb47b853
	v_add_f16_e32 v7, v36, v40
	s_mov_b32 s15, 0xbbad
	v_mul_f16_e32 v54, 0xb482, v8
	v_sub_f16_e32 v58, v45, v50
	s_movk_i32 s8, 0x3abb
	s_mov_b32 s16, 0x36a63abb
	v_pk_mul_f16 v72, v8, s18 op_sel_hi:[0,1]
	s_mov_b32 s20, 0xba0cbb47
	v_fma_f16 v52, v7, s15, -v54
	v_add_f16_e32 v57, v35, v39
	v_mul_f16_e32 v56, 0x3853, v58
	s_movk_i32 s14, 0x36a6
	v_fma_f16 v73, v7, s8, v72
	v_pk_fma_f16 v72, v7, s16, v72 op_sel_hi:[0,1,1] neg_lo:[0,0,1] neg_hi:[0,0,1]
	s_mov_b32 s17, 0xb93d36a6
	v_pk_mul_f16 v74, v58, s20 op_sel_hi:[0,1]
	v_add_f16_e32 v52, v52, v49
	v_fma_f16 v59, v57, s8, -v56
	v_sub_f16_e32 v60, v43, v48
	v_pk_add_f16 v72, v72, v49 op_sel_hi:[1,0]
	v_fma_f16 v75, v57, s14, v74
	v_pk_fma_f16 v74, v57, s17, v74 op_sel_hi:[0,1,1] neg_lo:[0,0,1] neg_hi:[0,0,1]
	s_mov_b32 s22, 0x3482bbeb
	v_add_f16_e32 v52, v59, v52
	v_add_f16_e32 v59, v34, v38
	s_mov_b32 s7, 0xb93d
	v_mul_f16_e32 v62, 0xba0c, v60
	s_mov_b32 s6, 0xb08e
	v_add_f16_e32 v73, v73, v49
	v_pk_add_f16 v72, v74, v72
	s_mov_b32 s19, 0xbbadb08e
	v_pk_mul_f16 v74, v60, s22 op_sel_hi:[0,1]
	v_fma_f16 v63, v59, s7, -v62
	v_sub_f16_e32 v64, v42, v47
	v_add_f16_e32 v73, v75, v73
	v_fma_f16 v75, v59, s6, v74
	v_pk_fma_f16 v74, v59, s19, v74 op_sel_hi:[0,1,1] neg_lo:[0,0,1] neg_hi:[0,0,1]
	s_mov_b32 s24, 0x3bebba0c
	v_add_f16_e32 v52, v63, v52
	v_add_f16_e32 v63, v32, v37
	v_mul_f16_e32 v66, 0x3b47, v64
	v_pk_add_f16 v72, v74, v72
	s_mov_b32 s21, 0xb08eb93d
	v_pk_mul_f16 v74, v64, s24 op_sel_hi:[0,1]
	v_fma_f16 v67, v63, s14, -v66
	v_sub_f16_e32 v68, v10, v44
	v_add_f16_e32 v73, v75, v73
	v_fma_f16 v75, v63, s7, v74
	v_pk_fma_f16 v74, v63, s21, v74 op_sel_hi:[0,1,1] neg_lo:[0,0,1] neg_hi:[0,0,1]
	s_mov_b32 s26, 0x3853b482
	v_add_f16_e32 v52, v67, v52
	v_add_f16_e32 v67, v4, v33
	v_pk_add_f16 v72, v74, v72
	s_mov_b32 s23, 0x3abbbbad
	v_pk_mul_f16 v74, v68, s26 op_sel_hi:[0,1]
	v_add_f16_e32 v73, v75, v73
	v_fma_f16 v75, v67, s15, v74
	v_pk_fma_f16 v74, v67, s23, v74 op_sel_hi:[0,1,1] neg_lo:[0,0,1] neg_hi:[0,0,1]
	s_mov_b32 s25, 0xb93db08e
	s_mov_b32 s28, 0xba0cbbeb
	v_add_f16_e32 v0, v49, v36
	v_mul_f16_e32 v53, 0xbbad, v7
	v_add_f16_e32 v73, v75, v73
	v_pk_add_f16 v72, v74, v72
	v_pk_mul_f16 v74, v7, s25 op_sel_hi:[0,1]
	v_pk_mul_f16 v75, v8, s28 op_sel_hi:[0,1]
	s_mov_b32 s27, 0xb08ebbad
	s_mov_b32 s30, 0x3beb3482
	;; [unrolled: 1-line block ×3, first 2 shown]
	v_add_f16_e32 v0, v0, v35
	v_mul_f16_e32 v55, 0x3abb, v57
	v_pk_fma_f16 v76, v7, s25, v75 op_sel_hi:[0,1,1] neg_lo:[0,0,1] neg_hi:[0,0,1]
	v_pk_mul_f16 v77, v57, s27 op_sel_hi:[0,1]
	v_pk_mul_f16 v78, v58, s30 op_sel_hi:[0,1]
	v_bfi_b32 v54, s9, v54, v75
	v_bfi_b32 v53, s9, v53, v74
	v_add_f16_e32 v0, v0, v34
	v_pk_add_f16 v76, v76, v49 op_sel_hi:[1,0]
	v_pk_fma_f16 v79, v57, s27, v78 op_sel_hi:[0,1,1] neg_lo:[0,0,1] neg_hi:[0,0,1]
	s_mov_b32 s29, 0x3abb36a6
	s_mov_b32 s33, 0xb8533b47
	v_pk_add_f16 v53, v54, v53
	v_bfi_b32 v54, s9, v56, v78
	v_bfi_b32 v55, s9, v55, v77
	v_add_f16_e32 v0, v0, v32
	v_mul_f16_e32 v61, 0xb93d, v59
	v_pk_add_f16 v76, v79, v76
	v_pk_mul_f16 v79, v59, s29 op_sel_hi:[0,1]
	v_pk_mul_f16 v80, v60, s33 op_sel_hi:[0,1]
	v_pk_add_f16 v53, v53, v49 op_sel_hi:[1,0]
	v_pk_add_f16 v54, v54, v55
	v_add_f16_e32 v0, v0, v4
	v_pk_fma_f16 v81, v59, s29, v80 op_sel_hi:[0,1,1] neg_lo:[0,0,1] neg_hi:[0,0,1]
	s_mov_b32 s31, 0xbbad3abb
	s_mov_b32 s35, 0xb482b853
	v_pk_add_f16 v53, v54, v53
	v_bfi_b32 v54, s9, v62, v80
	v_bfi_b32 v55, s9, v61, v79
	v_add_f16_e32 v0, v0, v33
	v_mul_f16_e32 v65, 0x36a6, v63
	v_pk_add_f16 v76, v81, v76
	v_pk_mul_f16 v81, v63, s31 op_sel_hi:[0,1]
	v_pk_mul_f16 v82, v64, s35 op_sel_hi:[0,1]
	v_pk_add_f16 v54, v54, v55
	v_add_f16_e32 v0, v0, v37
	v_pk_fma_f16 v83, v63, s31, v82 op_sel_hi:[0,1,1] neg_lo:[0,0,1] neg_hi:[0,0,1]
	s_mov_b32 s34, 0x36a6b93d
	s_mov_b32 s36, 0x3b47ba0c
	v_pk_add_f16 v53, v54, v53
	v_bfi_b32 v54, s9, v66, v82
	v_bfi_b32 v55, s9, v65, v81
	v_add_f16_e32 v0, v0, v38
	v_mul_f16_e32 v69, 0xb08e, v67
	v_mul_f16_e32 v70, 0xbbeb, v68
	v_pk_add_f16 v76, v83, v76
	v_pk_mul_f16 v83, v67, s34 op_sel_hi:[0,1]
	v_pk_mul_f16 v84, v68, s36 op_sel_hi:[0,1]
	v_pk_add_f16 v54, v54, v55
	v_add_f16_e32 v0, v0, v39
	v_pk_add_f16 v53, v54, v53
	v_bfi_b32 v54, s9, v70, v84
	v_bfi_b32 v55, s9, v69, v83
	v_add_f16_e32 v0, v0, v40
	v_pk_add_f16 v54, v54, v55
	s_mov_b32 s37, 0x36a6b08e
	v_pk_add_f16 v56, v54, v53
	v_pack_b32_f16 v53, v0, v72
	s_mov_b32 s42, 0xbb47bbeb
	v_pk_mul_f16 v0, v7, s37 op_sel_hi:[0,1]
	s_mov_b32 s38, 0xb93dbbad
	v_pk_fma_f16 v0, v8, s42, v0 op_sel_hi:[0,1,1]
	s_mov_b32 s43, 0xba0c3482
	v_pk_mul_f16 v7, v57, s38 op_sel_hi:[0,1]
	v_pk_add_f16 v0, v0, v49 op_sel_hi:[1,0]
	v_pk_fma_f16 v7, v58, s43, v7 op_sel_hi:[0,1,1]
	s_mov_b32 s39, 0xbbad36a6
	v_pk_add_f16 v0, v7, v0
	s_mov_b32 s44, 0x34823b47
	v_pk_mul_f16 v7, v59, s39 op_sel_hi:[0,1]
	v_pk_fma_f16 v7, v60, s44, v7 op_sel_hi:[0,1,1]
	s_mov_b32 s40, 0xb08e3abb
	v_pk_add_f16 v0, v7, v0
	s_mov_b32 s45, 0x3bebb853
	v_pk_mul_f16 v7, v63, s40 op_sel_hi:[0,1]
	v_pk_fma_f16 v7, v64, s45, v7 op_sel_hi:[0,1,1]
	s_mov_b32 s41, 0x3abbb93d
	v_fma_f16 v71, v67, s6, -v70
	v_pk_fma_f16 v85, v67, s34, v84 op_sel_hi:[0,1,1] neg_lo:[0,0,1] neg_hi:[0,0,1]
	v_pk_add_f16 v0, v7, v0
	s_mov_b32 s46, 0x3853ba0c
	v_pk_mul_f16 v7, v67, s41 op_sel_hi:[0,1]
	v_add_f16_e32 v71, v71, v52
	v_pk_add_f16 v76, v85, v76
	v_pk_fma_f16 v7, v68, s46, v7 op_sel_hi:[0,1,1]
	v_mad_u32_u24 v52, v3, 22, 0
	v_alignbit_b32 v55, v71, v76, 16
	v_alignbit_b32 v54, v76, v72, 16
	v_pk_add_f16 v0, v7, v0
	v_cmp_gt_u32_e32 vcc, 63, v3
	ds_write_b128 v52, v[53:56]
	ds_write_b32 v52, v0 offset:16
	ds_write_b16 v52, v73 offset:20
	s_and_saveexec_b64 s[4:5], vcc
	s_cbranch_execz .LBB0_17
; %bb.16:
	v_sub_f16_e32 v49, v29, v31
	v_add_f16_e32 v7, v17, v28
	v_mul_f16_e32 v53, 0xb482, v49
	v_sub_f16_e32 v58, v27, v30
	v_add_f16_e32 v57, v16, v23
	v_mul_f16_e32 v55, 0x3853, v58
	v_sub_f16_e32 v60, v25, v26
	v_fma_f16 v70, v7, s15, -v53
	v_add_f16_e32 v59, v15, v19
	v_mul_f16_e32 v61, 0xba0c, v60
	v_sub_f16_e32 v64, v22, v24
	v_add_f16_e32 v70, v41, v70
	v_fma_f16 v71, v57, s8, -v55
	v_add_f16_e32 v62, v13, v18
	v_mul_f16_e32 v65, 0x3b47, v64
	v_sub_f16_e32 v68, v20, v21
	v_add_f16_e32 v70, v70, v71
	v_fma_f16 v71, v59, s7, -v61
	v_add_f16_e32 v66, v12, v14
	v_mul_f16_e32 v69, 0xbbeb, v68
	v_add_f16_e32 v70, v70, v71
	v_fma_f16 v71, v62, s14, -v65
	v_add_f16_e32 v70, v70, v71
	v_fma_f16 v71, v66, s6, -v69
	v_add_f16_e32 v70, v71, v70
	v_pk_mul_f16 v71, v49, s18 op_sel_hi:[0,1]
	v_pk_mul_f16 v72, v58, s20 op_sel_hi:[0,1]
	v_fma_f16 v76, v7, s8, v71
	v_pk_fma_f16 v71, v7, s16, v71 op_sel_hi:[0,1,1] neg_lo:[0,0,1] neg_hi:[0,0,1]
	v_pk_mul_f16 v73, v60, s22 op_sel_hi:[0,1]
	v_fma_f16 v77, v57, s14, v72
	v_pk_add_f16 v71, v41, v71 op_sel_hi:[0,1]
	v_pk_fma_f16 v72, v57, s17, v72 op_sel_hi:[0,1,1] neg_lo:[0,0,1] neg_hi:[0,0,1]
	v_pk_mul_f16 v74, v64, s24 op_sel_hi:[0,1]
	v_pk_add_f16 v71, v71, v72
	v_pk_fma_f16 v72, v59, s19, v73 op_sel_hi:[0,1,1] neg_lo:[0,0,1] neg_hi:[0,0,1]
	v_pk_mul_f16 v75, v68, s26 op_sel_hi:[0,1]
	v_add_f16_e32 v76, v41, v76
	v_pk_add_f16 v71, v71, v72
	v_pk_fma_f16 v72, v62, s21, v74 op_sel_hi:[0,1,1] neg_lo:[0,0,1] neg_hi:[0,0,1]
	v_add_f16_e32 v76, v76, v77
	v_fma_f16 v77, v59, s6, v73
	v_pk_add_f16 v71, v71, v72
	v_pk_fma_f16 v72, v66, s23, v75 op_sel_hi:[0,1,1] neg_lo:[0,0,1] neg_hi:[0,0,1]
	v_add_f16_e32 v0, v41, v17
	v_mul_f16_e32 v8, 0xbbad, v7
	v_add_f16_e32 v76, v76, v77
	v_fma_f16 v77, v62, s7, v74
	v_pk_add_f16 v71, v72, v71
	v_pk_mul_f16 v72, v7, s25 op_sel_hi:[0,1]
	v_pk_mul_f16 v73, v49, s28 op_sel_hi:[0,1]
	v_add_f16_e32 v0, v0, v16
	v_mul_f16_e32 v54, 0x3abb, v57
	v_add_f16_e32 v76, v76, v77
	v_fma_f16 v77, v66, s15, v75
	v_pk_mul_f16 v74, v57, s27 op_sel_hi:[0,1]
	v_pk_mul_f16 v75, v58, s30 op_sel_hi:[0,1]
	v_bfi_b32 v53, s9, v53, v73
	v_bfi_b32 v8, s9, v8, v72
	v_add_f16_e32 v0, v0, v15
	v_pk_add_f16 v8, v53, v8
	v_bfi_b32 v53, s9, v55, v75
	v_bfi_b32 v54, s9, v54, v74
	v_add_f16_e32 v0, v0, v13
	v_mul_f16_e32 v56, 0xb93d, v59
	v_add_f16_e32 v76, v77, v76
	v_pk_mul_f16 v77, v59, s29 op_sel_hi:[0,1]
	v_pk_mul_f16 v78, v60, s33 op_sel_hi:[0,1]
	v_pk_add_f16 v8, v41, v8 op_sel_hi:[0,1]
	v_pk_add_f16 v53, v53, v54
	v_add_f16_e32 v0, v0, v12
	v_pk_add_f16 v8, v8, v53
	v_bfi_b32 v53, s9, v61, v78
	v_bfi_b32 v54, s9, v56, v77
	v_add_f16_e32 v0, v0, v14
	v_mul_f16_e32 v63, 0x36a6, v62
	v_pk_mul_f16 v79, v62, s31 op_sel_hi:[0,1]
	v_pk_mul_f16 v80, v64, s35 op_sel_hi:[0,1]
	v_pk_add_f16 v53, v53, v54
	v_add_f16_e32 v0, v0, v18
	v_pk_add_f16 v8, v8, v53
	v_bfi_b32 v53, s9, v65, v80
	v_bfi_b32 v54, s9, v63, v79
	v_add_f16_e32 v0, v19, v0
	v_mul_f16_e32 v67, 0xb08e, v66
	v_pk_mul_f16 v81, v66, s34 op_sel_hi:[0,1]
	v_pk_mul_f16 v82, v68, s36 op_sel_hi:[0,1]
	v_pk_add_f16 v53, v53, v54
	v_add_f16_e32 v0, v23, v0
	v_pk_add_f16 v8, v8, v53
	v_bfi_b32 v53, s9, v69, v82
	v_bfi_b32 v54, s9, v67, v81
	v_add_f16_e32 v0, v28, v0
	v_pk_add_f16 v53, v53, v54
	v_pk_add_f16 v56, v53, v8
	v_pack_b32_f16 v53, v0, v71
	v_pk_mul_f16 v0, v7, s37 op_sel_hi:[0,1]
	v_pk_fma_f16 v83, v7, s25, v73 op_sel_hi:[0,1,1] neg_lo:[0,0,1] neg_hi:[0,0,1]
	v_pk_fma_f16 v0, v49, s42, v0 op_sel_hi:[0,1,1]
	v_pk_mul_f16 v7, v57, s38 op_sel_hi:[0,1]
	v_pk_add_f16 v0, v41, v0 op_sel_hi:[0,1]
	v_pk_fma_f16 v7, v58, s43, v7 op_sel_hi:[0,1,1]
	v_pk_add_f16 v0, v0, v7
	v_pk_mul_f16 v7, v59, s39 op_sel_hi:[0,1]
	v_pk_add_f16 v83, v41, v83 op_sel_hi:[0,1]
	v_pk_fma_f16 v84, v57, s27, v75 op_sel_hi:[0,1,1] neg_lo:[0,0,1] neg_hi:[0,0,1]
	v_pk_fma_f16 v7, v60, s44, v7 op_sel_hi:[0,1,1]
	v_pk_add_f16 v83, v83, v84
	v_pk_fma_f16 v84, v59, s29, v78 op_sel_hi:[0,1,1] neg_lo:[0,0,1] neg_hi:[0,0,1]
	v_pk_add_f16 v0, v0, v7
	v_pk_mul_f16 v7, v62, s40 op_sel_hi:[0,1]
	v_pk_add_f16 v83, v83, v84
	v_pk_fma_f16 v84, v62, s31, v80 op_sel_hi:[0,1,1] neg_lo:[0,0,1] neg_hi:[0,0,1]
	v_pk_fma_f16 v7, v64, s45, v7 op_sel_hi:[0,1,1]
	v_pk_add_f16 v83, v83, v84
	v_pk_fma_f16 v84, v66, s34, v82 op_sel_hi:[0,1,1] neg_lo:[0,0,1] neg_hi:[0,0,1]
	v_pk_add_f16 v0, v0, v7
	v_pk_mul_f16 v7, v66, s41 op_sel_hi:[0,1]
	v_pk_add_f16 v83, v84, v83
	v_pk_fma_f16 v7, v68, s46, v7 op_sel_hi:[0,1,1]
	v_alignbit_b32 v55, v70, v83, 16
	v_alignbit_b32 v54, v83, v71, 16
	v_pk_add_f16 v0, v7, v0
	ds_write_b128 v52, v[53:56] offset:2178
	ds_write_b32 v52, v0 offset:2194
	ds_write_b16 v52, v76 offset:2198
.LBB0_17:
	s_or_b64 exec, exec, s[4:5]
	v_add_f16_e32 v0, v9, v46
	v_add_f16_e32 v0, v0, v45
	;; [unrolled: 1-line block ×9, first 2 shown]
	v_sub_f16_e32 v7, v36, v40
	v_add_f16_e32 v53, v0, v51
	v_add_f16_e32 v0, v46, v51
	v_mul_f16_e32 v36, 0xb482, v7
	v_sub_f16_e32 v35, v35, v39
	v_fma_f16 v40, v0, s15, v36
	v_add_f16_e32 v41, v45, v50
	v_mul_f16_e32 v45, 0x3853, v35
	v_add_f16_e32 v40, v40, v9
	v_fma_f16 v46, v41, s8, v45
	v_sub_f16_e32 v34, v34, v38
	v_add_f16_e32 v40, v46, v40
	v_add_f16_e32 v43, v43, v48
	v_mul_f16_e32 v46, 0xba0c, v34
	v_sub_f16_e32 v32, v32, v37
	v_fma_f16 v48, v43, s7, v46
	v_add_f16_e32 v42, v42, v47
	v_mul_f16_e32 v47, 0x3b47, v32
	v_add_f16_e32 v40, v48, v40
	v_fma_f16 v48, v42, s14, v47
	v_sub_f16_e32 v4, v4, v33
	v_pk_mul_f16 v33, v7, s18 op_sel_hi:[0,1]
	v_add_f16_e32 v40, v48, v40
	v_add_f16_e32 v10, v10, v44
	v_fma_f16 v44, v0, s8, -v33
	v_pk_fma_f16 v33, v0, s16, v33 op_sel_hi:[0,1,1]
	v_pk_mul_f16 v48, v35, s20 op_sel_hi:[0,1]
	v_pk_add_f16 v33, v33, v9 op_sel_hi:[1,0]
	v_fma_f16 v49, v41, s14, -v48
	v_pk_fma_f16 v48, v41, s17, v48 op_sel_hi:[0,1,1]
	v_add_f16_e32 v44, v44, v9
	v_pk_add_f16 v33, v48, v33
	v_pk_mul_f16 v48, v34, s22 op_sel_hi:[0,1]
	v_add_f16_e32 v44, v49, v44
	v_fma_f16 v49, v43, s6, -v48
	v_pk_fma_f16 v48, v43, s19, v48 op_sel_hi:[0,1,1]
	v_pk_add_f16 v33, v48, v33
	v_pk_mul_f16 v48, v32, s24 op_sel_hi:[0,1]
	v_add_f16_e32 v44, v49, v44
	v_fma_f16 v49, v42, s7, -v48
	v_pk_fma_f16 v48, v42, s21, v48 op_sel_hi:[0,1,1]
	v_add_f16_e32 v44, v49, v44
	v_pk_add_f16 v33, v48, v33
	v_pk_mul_f16 v48, v10, s23 op_sel_hi:[0,1]
	v_pk_mul_f16 v49, v4, s26 op_sel_hi:[0,1]
	v_sub_f16_e32 v48, v48, v49
	s_mov_b32 s7, 0x3b473beb
	v_pk_fma_f16 v50, v10, s23, v49 op_sel_hi:[0,1,1]
	v_add_f16_e32 v54, v48, v44
	v_pk_mul_f16 v44, v7, s28 op_sel_hi:[0,1]
	v_pk_mul_f16 v7, v7, s7 op_sel_hi:[0,1]
	s_mov_b32 s8, 0x3a0cb482
	v_mul_f16_e32 v8, 0xbbad, v0
	v_pk_add_f16 v48, v50, v33
	v_pk_mul_f16 v33, v0, s25 op_sel_hi:[0,1]
	v_pk_fma_f16 v49, v0, s25, v44 op_sel_hi:[0,1,1]
	v_pk_fma_f16 v0, v0, s37, v7 op_sel_hi:[0,1,1]
	v_pk_mul_f16 v7, v35, s8 op_sel_hi:[0,1]
	v_pk_add_f16 v0, v0, v9 op_sel_hi:[1,0]
	v_pk_fma_f16 v7, v41, s38, v7 op_sel_hi:[0,1,1]
	s_mov_b32 s14, 0xb482bb47
	v_pk_add_f16 v0, v7, v0
	v_pk_mul_f16 v7, v34, s14 op_sel_hi:[0,1]
	v_pk_fma_f16 v7, v43, s39, v7 op_sel_hi:[0,1,1]
	s_mov_b32 s15, 0xbbeb3853
	v_pk_add_f16 v0, v7, v0
	v_pk_mul_f16 v7, v32, s15 op_sel_hi:[0,1]
	v_pk_mul_f16 v51, v35, s30 op_sel_hi:[0,1]
	v_pk_fma_f16 v7, v42, s40, v7 op_sel_hi:[0,1,1]
	s_mov_b32 s16, 0xb8533a0c
	v_pk_add_f16 v49, v49, v9 op_sel_hi:[1,0]
	v_pk_fma_f16 v55, v41, s27, v51 op_sel_hi:[0,1,1]
	v_pk_mul_f16 v56, v34, s33 op_sel_hi:[0,1]
	v_pk_add_f16 v0, v7, v0
	v_pk_mul_f16 v7, v4, s16 op_sel_hi:[0,1]
	v_pk_add_f16 v49, v55, v49
	v_pk_fma_f16 v57, v43, s29, v56 op_sel_hi:[0,1,1]
	v_pk_mul_f16 v58, v32, s35 op_sel_hi:[0,1]
	v_pk_mul_f16 v60, v4, s36 op_sel_hi:[0,1]
	v_pk_fma_f16 v7, v10, s41, v7 op_sel_hi:[0,1,1]
	v_mul_f16_e32 v4, 0xbbeb, v4
	v_pk_add_f16 v49, v57, v49
	v_pk_fma_f16 v59, v42, s31, v58 op_sel_hi:[0,1,1]
	v_pk_add_f16 v62, v7, v0
	v_fma_f16 v7, v10, s6, v4
	v_pk_add_f16 v49, v59, v49
	v_pk_mul_f16 v59, v10, s34 op_sel_hi:[0,1]
	v_pk_fma_f16 v61, v10, s34, v60 op_sel_hi:[0,1,1]
	v_mul_f16_e32 v0, 0xb08e, v10
	v_add_f16_e32 v10, v7, v40
	v_bfi_b32 v7, s9, v8, v33
	v_bfi_b32 v8, s9, v36, v44
	v_mul_f16_e32 v39, 0x3abb, v41
	v_pk_mul_f16 v50, v41, s27 op_sel_hi:[0,1]
	v_pk_add_f16 v7, v7, v8 neg_lo:[0,1] neg_hi:[0,1]
	v_pk_add_f16 v7, v7, v9 op_sel_hi:[1,0]
	v_bfi_b32 v8, s9, v39, v50
	v_bfi_b32 v9, s9, v45, v51
	v_mul_f16_e32 v38, 0xb93d, v43
	v_pk_mul_f16 v55, v43, s29 op_sel_hi:[0,1]
	v_pk_add_f16 v8, v8, v9 neg_lo:[0,1] neg_hi:[0,1]
	v_pk_add_f16 v7, v8, v7
	v_bfi_b32 v8, s9, v38, v55
	v_bfi_b32 v9, s9, v46, v56
	v_mul_f16_e32 v37, 0x36a6, v42
	v_pk_mul_f16 v57, v42, s31 op_sel_hi:[0,1]
	v_pk_add_f16 v8, v8, v9 neg_lo:[0,1] neg_hi:[0,1]
	v_pk_add_f16 v7, v8, v7
	v_bfi_b32 v8, s9, v37, v57
	v_bfi_b32 v9, s9, v47, v58
	v_pk_add_f16 v8, v8, v9 neg_lo:[0,1] neg_hi:[0,1]
	v_bfi_b32 v0, s9, v0, v59
	v_bfi_b32 v4, s9, v4, v60
	v_pk_add_f16 v7, v8, v7
	v_pk_add_f16 v0, v0, v4 neg_lo:[0,1] neg_hi:[0,1]
	s_movk_i32 s4, 0xffec
	v_pk_add_f16 v51, v0, v7
	v_mad_i32_i24 v0, v3, s4, v52
	s_waitcnt lgkmcnt(0)
	s_barrier
	ds_read_u16 v44, v0 offset:1386
	ds_read_u16 v42, v0 offset:2574
	;; [unrolled: 1-line block ×4, first 2 shown]
	ds_read_u16 v35, v0
	ds_read_u16 v34, v0 offset:198
	ds_read_u16 v33, v0 offset:396
	;; [unrolled: 1-line block ×13, first 2 shown]
	v_pk_add_f16 v49, v61, v49
	v_add_u32_e32 v4, 0x63, v3
	v_alignbit_b32 v50, v10, v49, 16
	v_alignbit_b32 v49, v49, v48, 16
	v_pack_b32_f16 v48, v53, v48
	s_waitcnt lgkmcnt(0)
	s_barrier
	ds_write_b128 v52, v[48:51]
	ds_write_b32 v52, v62 offset:16
	ds_write_b16 v52, v54 offset:20
	s_and_saveexec_b64 s[4:5], vcc
	s_cbranch_execz .LBB0_19
; %bb.18:
	v_add_f16_e32 v9, v11, v29
	v_add_f16_e32 v9, v9, v27
	;; [unrolled: 1-line block ×8, first 2 shown]
	v_sub_f16_e32 v17, v17, v28
	v_add_f16_e32 v9, v30, v9
	v_add_f16_e32 v10, v29, v31
	s_mov_b32 s6, 0xbbad
	v_mul_f16_e32 v29, 0xb482, v17
	v_sub_f16_e32 v16, v16, v23
	v_add_f16_e32 v9, v31, v9
	v_fma_f16 v31, v10, s6, v29
	v_add_f16_e32 v27, v27, v30
	s_movk_i32 s6, 0x3abb
	v_mul_f16_e32 v30, 0x3853, v16
	v_sub_f16_e32 v15, v15, v19
	v_add_f16_e32 v31, v11, v31
	v_fma_f16 v48, v27, s6, v30
	v_add_f16_e32 v25, v25, v26
	s_mov_b32 s9, 0xb93d
	v_mul_f16_e32 v26, 0xba0c, v15
	v_sub_f16_e32 v13, v13, v18
	s_mov_b32 s19, 0xbb47b853
	v_add_f16_e32 v31, v31, v48
	v_fma_f16 v48, v25, s9, v26
	v_add_f16_e32 v22, v22, v24
	s_movk_i32 s17, 0x36a6
	v_mul_f16_e32 v24, 0x3b47, v13
	v_sub_f16_e32 v12, v12, v14
	s_mov_b32 s18, 0x36a63abb
	v_pk_mul_f16 v14, v17, s19 op_sel_hi:[0,1]
	v_add_f16_e32 v31, v31, v48
	v_fma_f16 v48, v22, s17, v24
	v_add_f16_e32 v20, v20, v21
	v_fma_f16 v21, v10, s6, -v14
	v_pk_fma_f16 v14, v10, s18, v14 op_sel_hi:[0,1,1]
	s_mov_b32 s18, 0xba0cbb47
	v_add_f16_e32 v31, v31, v48
	s_mov_b32 s6, 0xb93d36a6
	v_pk_mul_f16 v48, v16, s18 op_sel_hi:[0,1]
	v_pk_add_f16 v14, v11, v14 op_sel_hi:[0,1]
	v_fma_f16 v49, v27, s17, -v48
	v_pk_fma_f16 v48, v27, s6, v48 op_sel_hi:[0,1,1]
	s_mov_b32 s17, 0x3482bbeb
	v_add_f16_e32 v21, v11, v21
	v_pk_add_f16 v14, v14, v48
	s_mov_b32 s6, 0xbbadb08e
	v_pk_mul_f16 v48, v15, s17 op_sel_hi:[0,1]
	s_mov_b32 s17, 0xb08e
	v_add_f16_e32 v21, v21, v49
	v_fma_f16 v49, v25, s17, -v48
	v_pk_fma_f16 v48, v25, s6, v48 op_sel_hi:[0,1,1]
	s_mov_b32 s18, 0x3bebba0c
	v_pk_add_f16 v14, v14, v48
	s_mov_b32 s6, 0xb08eb93d
	v_pk_mul_f16 v48, v13, s18 op_sel_hi:[0,1]
	v_add_f16_e32 v21, v21, v49
	v_fma_f16 v49, v22, s9, -v48
	v_pk_fma_f16 v48, v22, s6, v48 op_sel_hi:[0,1,1]
	s_mov_b32 s6, 0x3abbbbad
	s_mov_b32 s9, 0x3853b482
	v_add_f16_e32 v21, v21, v49
	v_pk_add_f16 v14, v14, v48
	v_pk_mul_f16 v48, v20, s6 op_sel_hi:[0,1]
	v_pk_mul_f16 v49, v12, s9 op_sel_hi:[0,1]
	s_mov_b32 s9, 0xba0cbbeb
	v_pk_fma_f16 v50, v20, s6, v49 op_sel_hi:[0,1,1]
	v_sub_f16_e32 v48, v48, v49
	s_mov_b32 s6, 0xb93db08e
	v_pk_mul_f16 v49, v17, s9 op_sel_hi:[0,1]
	s_mov_b32 s9, 0x3beb3482
	v_add_f16_e32 v21, v48, v21
	v_pk_add_f16 v14, v50, v14
	v_pk_mul_f16 v48, v10, s6 op_sel_hi:[0,1]
	v_pk_fma_f16 v50, v10, s6, v49 op_sel_hi:[0,1,1]
	s_mov_b32 s6, 0xb08ebbad
	v_pk_mul_f16 v52, v16, s9 op_sel_hi:[0,1]
	s_mov_b32 s9, 0xb8533b47
	v_pk_add_f16 v50, v11, v50 op_sel_hi:[0,1]
	v_pk_mul_f16 v51, v27, s6 op_sel_hi:[0,1]
	v_pk_fma_f16 v53, v27, s6, v52 op_sel_hi:[0,1,1]
	s_mov_b32 s6, 0x3abb36a6
	v_pk_mul_f16 v54, v15, s9 op_sel_hi:[0,1]
	s_mov_b32 s9, 0xb482b853
	v_pk_add_f16 v50, v50, v53
	v_pk_mul_f16 v53, v25, s6 op_sel_hi:[0,1]
	v_pk_fma_f16 v55, v25, s6, v54 op_sel_hi:[0,1,1]
	s_mov_b32 s6, 0xbbad3abb
	v_pk_mul_f16 v56, v13, s9 op_sel_hi:[0,1]
	s_mov_b32 s9, 0x3b47ba0c
	v_pk_add_f16 v50, v50, v55
	v_pk_mul_f16 v55, v22, s6 op_sel_hi:[0,1]
	v_pk_fma_f16 v57, v22, s6, v56 op_sel_hi:[0,1,1]
	s_mov_b32 s6, 0x36a6b93d
	v_pk_mul_f16 v58, v12, s9 op_sel_hi:[0,1]
	v_pk_add_f16 v50, v50, v57
	v_pk_mul_f16 v57, v20, s6 op_sel_hi:[0,1]
	v_pk_fma_f16 v59, v20, s6, v58 op_sel_hi:[0,1,1]
	s_mov_b32 s6, 0x36a6b08e
	v_pk_mul_f16 v17, v17, s7 op_sel_hi:[0,1]
	v_mul_f16_e32 v28, 0xbbad, v10
	v_pk_fma_f16 v10, v10, s6, v17 op_sel_hi:[0,1,1]
	s_mov_b32 s6, 0xb93dbbad
	v_pk_mul_f16 v16, v16, s8 op_sel_hi:[0,1]
	v_pk_add_f16 v10, v11, v10 op_sel_hi:[0,1]
	v_pk_fma_f16 v16, v27, s6, v16 op_sel_hi:[0,1,1]
	s_mov_b32 s6, 0xbbad36a6
	v_pk_mul_f16 v15, v15, s14 op_sel_hi:[0,1]
	v_pk_add_f16 v10, v10, v16
	v_pk_fma_f16 v15, v25, s6, v15 op_sel_hi:[0,1,1]
	s_mov_b32 s6, 0xb08e3abb
	v_pk_mul_f16 v13, v13, s15 op_sel_hi:[0,1]
	v_pk_add_f16 v10, v10, v15
	v_pk_fma_f16 v13, v22, s6, v13 op_sel_hi:[0,1,1]
	v_pk_add_f16 v10, v10, v13
	s_mov_b32 s6, 0x3abbb93d
	v_pk_mul_f16 v13, v12, s16 op_sel_hi:[0,1]
	v_pk_fma_f16 v13, v20, s6, v13 op_sel_hi:[0,1,1]
	v_mul_f16_e32 v12, 0xbbeb, v12
	s_mov_b32 s6, 0xffff
	v_mul_f16_e32 v15, 0xb08e, v20
	v_fma_f16 v16, v20, s17, v12
	v_bfi_b32 v17, s6, v28, v48
	v_bfi_b32 v20, s6, v29, v49
	v_mul_f16_e32 v23, 0x3abb, v27
	v_pk_add_f16 v17, v17, v20 neg_lo:[0,1] neg_hi:[0,1]
	v_pk_add_f16 v11, v11, v17 op_sel_hi:[0,1]
	v_bfi_b32 v17, s6, v23, v51
	v_bfi_b32 v20, s6, v30, v52
	v_mul_f16_e32 v19, 0xb93d, v25
	v_pk_add_f16 v17, v17, v20 neg_lo:[0,1] neg_hi:[0,1]
	v_pk_add_f16 v11, v11, v17
	v_bfi_b32 v17, s6, v19, v53
	v_bfi_b32 v19, s6, v26, v54
	v_mul_f16_e32 v18, 0x36a6, v22
	v_pk_add_f16 v17, v17, v19 neg_lo:[0,1] neg_hi:[0,1]
	v_pk_add_f16 v11, v11, v17
	v_bfi_b32 v17, s6, v18, v55
	v_bfi_b32 v18, s6, v24, v56
	v_pk_add_f16 v17, v17, v18 neg_lo:[0,1] neg_hi:[0,1]
	v_bfi_b32 v15, s6, v15, v57
	v_bfi_b32 v12, s6, v12, v58
	v_pk_add_f16 v13, v13, v10
	v_pk_add_f16 v10, v59, v50
	v_add_f16_e32 v16, v16, v31
	v_pk_add_f16 v11, v11, v17
	v_pk_add_f16 v12, v15, v12 neg_lo:[0,1] neg_hi:[0,1]
	v_pk_add_f16 v12, v12, v11
	v_mad_u32_u24 v15, v4, 22, 0
	v_alignbit_b32 v11, v16, v10, 16
	v_alignbit_b32 v10, v10, v14, 16
	v_pack_b32_f16 v9, v9, v14
	ds_write_b128 v15, v[9:12]
	ds_write_b32 v15, v13 offset:16
	ds_write_b16 v15, v21 offset:20
.LBB0_19:
	s_or_b64 exec, exec, s[4:5]
	s_movk_i32 s4, 0x75
	v_mul_lo_u16_sdwa v9, v3, s4 dst_sel:DWORD dst_unused:UNUSED_PAD src0_sel:BYTE_0 src1_sel:DWORD
	v_sub_u16_sdwa v10, v3, v9 dst_sel:DWORD dst_unused:UNUSED_PAD src0_sel:DWORD src1_sel:BYTE_1
	v_lshrrev_b16_e32 v10, 1, v10
	v_and_b32_e32 v10, 0x7f, v10
	v_add_u16_sdwa v9, v10, v9 dst_sel:DWORD dst_unused:UNUSED_PAD src0_sel:DWORD src1_sel:BYTE_1
	v_mul_lo_u16_sdwa v10, v4, s4 dst_sel:DWORD dst_unused:UNUSED_PAD src0_sel:BYTE_0 src1_sel:DWORD
	v_sub_u16_sdwa v11, v4, v10 dst_sel:DWORD dst_unused:UNUSED_PAD src0_sel:DWORD src1_sel:BYTE_1
	v_lshrrev_b16_e32 v25, 3, v9
	v_lshrrev_b16_e32 v11, 1, v11
	v_mul_lo_u16_e32 v9, 11, v25
	v_and_b32_e32 v11, 0x7f, v11
	v_sub_u16_e32 v26, v3, v9
	v_mov_b32_e32 v27, 3
	v_add_u16_sdwa v10, v11, v10 dst_sel:DWORD dst_unused:UNUSED_PAD src0_sel:DWORD src1_sel:BYTE_1
	v_lshlrev_b32_sdwa v9, v27, v26 dst_sel:DWORD dst_unused:UNUSED_PAD src0_sel:DWORD src1_sel:BYTE_0
	v_lshrrev_b16_e32 v28, 3, v10
	s_waitcnt lgkmcnt(0)
	s_barrier
	global_load_dwordx2 v[13:14], v9, s[12:13]
	v_mul_lo_u16_e32 v9, 11, v28
	v_sub_u16_e32 v29, v4, v9
	v_lshlrev_b32_sdwa v9, v27, v29 dst_sel:DWORD dst_unused:UNUSED_PAD src0_sel:DWORD src1_sel:BYTE_0
	global_load_dwordx2 v[15:16], v9, s[12:13]
	v_add_u32_e32 v9, 0xc6, v3
	s_mov_b32 s4, 0xba2f
	v_mul_u32_u24_sdwa v10, v9, s4 dst_sel:DWORD dst_unused:UNUSED_PAD src0_sel:WORD_0 src1_sel:DWORD
	v_lshrrev_b32_e32 v30, 19, v10
	v_mul_lo_u16_e32 v10, 11, v30
	v_sub_u16_e32 v31, v9, v10
	v_lshlrev_b32_e32 v10, 3, v31
	global_load_dwordx2 v[17:18], v10, s[12:13]
	v_add_u32_e32 v10, 0x129, v3
	v_mul_u32_u24_sdwa v11, v10, s4 dst_sel:DWORD dst_unused:UNUSED_PAD src0_sel:WORD_0 src1_sel:DWORD
	v_lshrrev_b32_e32 v48, 19, v11
	v_mul_lo_u16_e32 v11, 11, v48
	v_sub_u16_e32 v49, v10, v11
	v_lshlrev_b32_e32 v11, 3, v49
	global_load_dwordx2 v[19:20], v11, s[12:13]
	v_add_u32_e32 v11, 0x18c, v3
	;; [unrolled: 7-line block ×3, first 2 shown]
	v_mul_u32_u24_sdwa v23, v12, s4 dst_sel:DWORD dst_unused:UNUSED_PAD src0_sel:WORD_0 src1_sel:DWORD
	v_lshrrev_b32_e32 v52, 19, v23
	v_mul_lo_u16_e32 v23, 11, v52
	v_sub_u16_e32 v53, v12, v23
	v_lshlrev_b32_e32 v23, 3, v53
	global_load_dwordx2 v[23:24], v23, s[12:13]
	ds_read_u16 v54, v0 offset:1386
	ds_read_u16 v55, v0 offset:2574
	;; [unrolled: 1-line block ×4, first 2 shown]
	ds_read_u16 v58, v0
	ds_read_u16 v59, v0 offset:198
	ds_read_u16 v60, v0 offset:396
	;; [unrolled: 1-line block ×13, first 2 shown]
	s_movk_i32 s4, 0x3aee
	s_mov_b32 s5, 0xbaee
	v_mov_b32_e32 v72, 1
	v_lshlrev_b32_sdwa v26, v72, v26 dst_sel:DWORD dst_unused:UNUSED_PAD src0_sel:DWORD src1_sel:BYTE_0
	v_lshlrev_b32_sdwa v29, v72, v29 dst_sel:DWORD dst_unused:UNUSED_PAD src0_sel:DWORD src1_sel:BYTE_0
	v_lshlrev_b32_e32 v31, 1, v31
	s_waitcnt vmcnt(0) lgkmcnt(0)
	s_barrier
	s_movk_i32 s6, 0xf9
	v_mul_f16_sdwa v73, v66, v13 dst_sel:DWORD dst_unused:UNUSED_PAD src0_sel:DWORD src1_sel:WORD_1
	v_mul_f16_sdwa v75, v68, v14 dst_sel:DWORD dst_unused:UNUSED_PAD src0_sel:DWORD src1_sel:WORD_1
	;; [unrolled: 1-line block ×6, first 2 shown]
	v_fma_f16 v44, v44, v15, -v77
	v_fma_f16 v15, v54, v15, v78
	v_mul_f16_sdwa v79, v55, v16 dst_sel:DWORD dst_unused:UNUSED_PAD src0_sel:DWORD src1_sel:WORD_1
	v_mul_f16_sdwa v80, v42, v16 dst_sel:DWORD dst_unused:UNUSED_PAD src0_sel:DWORD src1_sel:WORD_1
	v_fma_f16 v46, v46, v13, -v73
	v_fma_f16 v47, v47, v14, -v75
	v_mul_f16_sdwa v54, v63, v17 dst_sel:DWORD dst_unused:UNUSED_PAD src0_sel:DWORD src1_sel:WORD_1
	v_fma_f16 v54, v45, v17, -v54
	v_mul_f16_sdwa v45, v45, v17 dst_sel:DWORD dst_unused:UNUSED_PAD src0_sel:DWORD src1_sel:WORD_1
	v_fma_f16 v17, v63, v17, v45
	v_mul_f16_sdwa v45, v56, v18 dst_sel:DWORD dst_unused:UNUSED_PAD src0_sel:DWORD src1_sel:WORD_1
	v_fma_f16 v45, v41, v18, -v45
	v_mul_f16_sdwa v41, v41, v18 dst_sel:DWORD dst_unused:UNUSED_PAD src0_sel:DWORD src1_sel:WORD_1
	v_fma_f16 v18, v56, v18, v41
	v_lshlrev_b32_e32 v41, 1, v49
	v_mul_f16_sdwa v49, v64, v19 dst_sel:DWORD dst_unused:UNUSED_PAD src0_sel:DWORD src1_sel:WORD_1
	v_fma_f16 v49, v43, v19, -v49
	v_mul_f16_sdwa v43, v43, v19 dst_sel:DWORD dst_unused:UNUSED_PAD src0_sel:DWORD src1_sel:WORD_1
	v_fma_f16 v19, v64, v19, v43
	v_mul_f16_sdwa v43, v57, v20 dst_sel:DWORD dst_unused:UNUSED_PAD src0_sel:DWORD src1_sel:WORD_1
	v_fma_f16 v43, v38, v20, -v43
	v_mul_f16_sdwa v38, v38, v20 dst_sel:DWORD dst_unused:UNUSED_PAD src0_sel:DWORD src1_sel:WORD_1
	v_fma_f16 v20, v57, v20, v38
	v_lshlrev_b32_e32 v38, 1, v51
	;; [unrolled: 9-line block ×3, first 2 shown]
	v_mul_f16_sdwa v53, v69, v23 dst_sel:DWORD dst_unused:UNUSED_PAD src0_sel:DWORD src1_sel:WORD_1
	v_fma_f16 v53, v37, v23, -v53
	v_mul_f16_sdwa v37, v37, v23 dst_sel:DWORD dst_unused:UNUSED_PAD src0_sel:DWORD src1_sel:WORD_1
	v_fma_f16 v23, v69, v23, v37
	v_mul_f16_sdwa v37, v71, v24 dst_sel:DWORD dst_unused:UNUSED_PAD src0_sel:DWORD src1_sel:WORD_1
	v_fma_f16 v13, v66, v13, v74
	v_fma_f16 v14, v68, v14, v76
	v_fma_f16 v42, v42, v16, -v79
	v_fma_f16 v16, v55, v16, v80
	v_fma_f16 v37, v36, v24, -v37
	v_mul_f16_sdwa v36, v36, v24 dst_sel:DWORD dst_unused:UNUSED_PAD src0_sel:DWORD src1_sel:WORD_1
	v_add_f16_e32 v55, v46, v47
	v_fma_f16 v24, v71, v24, v36
	v_add_f16_e32 v36, v35, v46
	v_fma_f16 v35, v55, -0.5, v35
	v_sub_f16_e32 v55, v13, v14
	v_fma_f16 v56, v55, s4, v35
	v_fma_f16 v35, v55, s5, v35
	v_add_f16_e32 v55, v58, v13
	v_add_f16_e32 v13, v13, v14
	;; [unrolled: 1-line block ×4, first 2 shown]
	v_fma_f16 v13, v13, -0.5, v58
	v_sub_f16_e32 v14, v46, v47
	v_add_f16_e32 v47, v44, v42
	v_fma_f16 v46, v14, s5, v13
	v_fma_f16 v13, v14, s4, v13
	v_add_f16_e32 v14, v34, v44
	v_fma_f16 v34, v47, -0.5, v34
	v_sub_f16_e32 v47, v15, v16
	v_fma_f16 v57, v47, s4, v34
	v_fma_f16 v34, v47, s5, v34
	v_add_f16_e32 v47, v59, v15
	v_add_f16_e32 v15, v15, v16
	v_add_f16_e32 v47, v47, v16
	v_fma_f16 v15, v15, -0.5, v59
	v_sub_f16_e32 v16, v44, v42
	v_add_f16_e32 v44, v54, v45
	v_add_f16_e32 v14, v14, v42
	v_fma_f16 v42, v16, s5, v15
	v_fma_f16 v15, v16, s4, v15
	v_add_f16_e32 v16, v33, v54
	v_fma_f16 v33, v44, -0.5, v33
	v_sub_f16_e32 v44, v17, v18
	v_fma_f16 v58, v44, s4, v33
	v_fma_f16 v33, v44, s5, v33
	v_add_f16_e32 v44, v60, v17
	v_add_f16_e32 v17, v17, v18
	v_add_f16_e32 v44, v44, v18
	v_fma_f16 v17, v17, -0.5, v60
	v_sub_f16_e32 v18, v54, v45
	v_add_f16_e32 v54, v49, v43
	;; [unrolled: 14-line block ×5, first 2 shown]
	v_fma_f16 v37, v24, s5, v23
	v_fma_f16 v23, v24, s4, v23
	v_mul_u32_u24_e32 v24, 0x42, v25
	v_mul_u32_u24_e32 v25, 0x42, v28
	v_add3_u32 v24, 0, v24, v26
	v_add3_u32 v25, 0, v25, v29
	ds_write_b16 v24, v36
	ds_write_b16 v24, v56 offset:22
	ds_write_b16 v24, v35 offset:44
	ds_write_b16 v25, v14
	ds_write_b16 v25, v57 offset:22
	ds_write_b16 v25, v34 offset:44
	v_mul_u32_u24_e32 v14, 0x42, v30
	v_add3_u32 v14, 0, v14, v31
	ds_write_b16 v14, v16
	ds_write_b16 v14, v58 offset:22
	ds_write_b16 v14, v33 offset:44
	v_mul_u32_u24_e32 v16, 0x42, v48
	v_add3_u32 v16, 0, v16, v41
	;; [unrolled: 5-line block ×4, first 2 shown]
	ds_write_b16 v8, v22
	ds_write_b16 v8, v61 offset:22
	ds_write_b16 v8, v7 offset:44
	v_mul_lo_u16_sdwa v7, v3, s6 dst_sel:DWORD dst_unused:UNUSED_PAD src0_sel:BYTE_0 src1_sel:DWORD
	s_waitcnt lgkmcnt(0)
	s_barrier
	ds_read_u16 v26, v0 offset:1386
	ds_read_u16 v28, v0 offset:2574
	;; [unrolled: 1-line block ×4, first 2 shown]
	ds_read_u16 v31, v0
	ds_read_u16 v32, v0 offset:198
	ds_read_u16 v33, v0 offset:396
	;; [unrolled: 1-line block ×13, first 2 shown]
	s_waitcnt lgkmcnt(0)
	s_barrier
	ds_write_b16 v24, v55
	ds_write_b16 v24, v46 offset:22
	ds_write_b16 v24, v13 offset:44
	ds_write_b16 v25, v47
	ds_write_b16 v25, v42 offset:22
	ds_write_b16 v25, v15 offset:44
	;; [unrolled: 3-line block ×6, first 2 shown]
	v_lshrrev_b16_e32 v23, 13, v7
	v_mul_lo_u16_e32 v7, 33, v23
	v_sub_u16_e32 v24, v3, v7
	v_lshlrev_b32_sdwa v7, v27, v24 dst_sel:DWORD dst_unused:UNUSED_PAD src0_sel:DWORD src1_sel:BYTE_0
	v_mul_lo_u16_sdwa v13, v4, s6 dst_sel:DWORD dst_unused:UNUSED_PAD src0_sel:BYTE_0 src1_sel:DWORD
	s_waitcnt lgkmcnt(0)
	s_barrier
	global_load_dwordx2 v[7:8], v7, s[12:13] offset:88
	v_lshrrev_b16_e32 v25, 13, v13
	v_mul_lo_u16_e32 v13, 33, v25
	v_sub_u16_e32 v37, v4, v13
	s_mov_b32 s6, 0xf83f
	v_lshlrev_b32_sdwa v13, v27, v37 dst_sel:DWORD dst_unused:UNUSED_PAD src0_sel:DWORD src1_sel:BYTE_0
	global_load_dwordx2 v[13:14], v13, s[12:13] offset:88
	v_mul_u32_u24_sdwa v15, v9, s6 dst_sel:DWORD dst_unused:UNUSED_PAD src0_sel:WORD_0 src1_sel:DWORD
	v_lshrrev_b32_e32 v27, 21, v15
	v_mul_lo_u16_e32 v15, 33, v27
	v_sub_u16_e32 v39, v9, v15
	v_lshlrev_b32_e32 v15, 3, v39
	global_load_dwordx2 v[15:16], v15, s[12:13] offset:88
	v_mul_u32_u24_sdwa v17, v10, s6 dst_sel:DWORD dst_unused:UNUSED_PAD src0_sel:WORD_0 src1_sel:DWORD
	v_lshrrev_b32_e32 v42, 21, v17
	v_mul_lo_u16_e32 v17, 33, v42
	v_sub_u16_e32 v43, v10, v17
	v_lshlrev_b32_e32 v17, 3, v43
	global_load_dwordx2 v[17:18], v17, s[12:13] offset:88
	v_mul_u32_u24_sdwa v19, v11, s6 dst_sel:DWORD dst_unused:UNUSED_PAD src0_sel:WORD_0 src1_sel:DWORD
	v_lshrrev_b32_e32 v44, 21, v19
	v_mul_lo_u16_e32 v19, 33, v44
	v_sub_u16_e32 v45, v11, v19
	v_mul_u32_u24_sdwa v21, v12, s6 dst_sel:DWORD dst_unused:UNUSED_PAD src0_sel:WORD_0 src1_sel:DWORD
	v_lshlrev_b32_e32 v19, 3, v45
	v_lshrrev_b32_e32 v46, 21, v21
	global_load_dwordx2 v[19:20], v19, s[12:13] offset:88
	v_mul_lo_u16_e32 v21, 33, v46
	v_sub_u16_e32 v47, v12, v21
	v_lshlrev_b32_e32 v21, 3, v47
	global_load_dwordx2 v[21:22], v21, s[12:13] offset:88
	ds_read_u16 v49, v0 offset:1386
	ds_read_u16 v51, v0 offset:2574
	;; [unrolled: 1-line block ×4, first 2 shown]
	ds_read_u16 v57, v0
	ds_read_u16 v58, v0 offset:198
	ds_read_u16 v59, v0 offset:396
	;; [unrolled: 1-line block ×13, first 2 shown]
	v_lshlrev_b32_sdwa v24, v72, v24 dst_sel:DWORD dst_unused:UNUSED_PAD src0_sel:DWORD src1_sel:BYTE_0
	v_lshlrev_b32_sdwa v37, v72, v37 dst_sel:DWORD dst_unused:UNUSED_PAD src0_sel:DWORD src1_sel:BYTE_0
	s_waitcnt vmcnt(0) lgkmcnt(0)
	s_barrier
	v_lshlrev_b32_e32 v47, 1, v47
	s_mov_b32 s6, 0xa57f
	v_mul_f16_sdwa v71, v65, v7 dst_sel:DWORD dst_unused:UNUSED_PAD src0_sel:DWORD src1_sel:WORD_1
	v_fma_f16 v71, v41, v7, -v71
	v_mul_f16_sdwa v41, v41, v7 dst_sel:DWORD dst_unused:UNUSED_PAD src0_sel:DWORD src1_sel:WORD_1
	v_fma_f16 v7, v65, v7, v41
	v_mul_f16_sdwa v41, v67, v8 dst_sel:DWORD dst_unused:UNUSED_PAD src0_sel:DWORD src1_sel:WORD_1
	v_fma_f16 v41, v50, v8, -v41
	v_mul_f16_sdwa v50, v50, v8 dst_sel:DWORD dst_unused:UNUSED_PAD src0_sel:DWORD src1_sel:WORD_1
	v_fma_f16 v8, v67, v8, v50
	;; [unrolled: 4-line block ×4, first 2 shown]
	v_lshlrev_b32_e32 v28, 1, v39
	v_mul_f16_sdwa v39, v62, v15 dst_sel:DWORD dst_unused:UNUSED_PAD src0_sel:DWORD src1_sel:WORD_1
	v_fma_f16 v39, v36, v15, -v39
	v_mul_f16_sdwa v36, v36, v15 dst_sel:DWORD dst_unused:UNUSED_PAD src0_sel:DWORD src1_sel:WORD_1
	v_fma_f16 v15, v62, v15, v36
	v_mul_f16_sdwa v36, v54, v16 dst_sel:DWORD dst_unused:UNUSED_PAD src0_sel:DWORD src1_sel:WORD_1
	v_fma_f16 v36, v29, v16, -v36
	v_mul_f16_sdwa v29, v29, v16 dst_sel:DWORD dst_unused:UNUSED_PAD src0_sel:DWORD src1_sel:WORD_1
	v_fma_f16 v16, v54, v16, v29
	v_lshlrev_b32_e32 v29, 1, v43
	v_mul_f16_sdwa v43, v63, v17 dst_sel:DWORD dst_unused:UNUSED_PAD src0_sel:DWORD src1_sel:WORD_1
	v_fma_f16 v43, v38, v17, -v43
	v_mul_f16_sdwa v38, v38, v17 dst_sel:DWORD dst_unused:UNUSED_PAD src0_sel:DWORD src1_sel:WORD_1
	v_fma_f16 v17, v63, v17, v38
	v_mul_f16_sdwa v38, v55, v18 dst_sel:DWORD dst_unused:UNUSED_PAD src0_sel:DWORD src1_sel:WORD_1
	v_fma_f16 v38, v30, v18, -v38
	v_mul_f16_sdwa v30, v30, v18 dst_sel:DWORD dst_unused:UNUSED_PAD src0_sel:DWORD src1_sel:WORD_1
	v_fma_f16 v18, v55, v18, v30
	v_lshlrev_b32_e32 v30, 1, v45
	v_mul_f16_sdwa v45, v64, v19 dst_sel:DWORD dst_unused:UNUSED_PAD src0_sel:DWORD src1_sel:WORD_1
	v_fma_f16 v45, v40, v19, -v45
	v_mul_f16_sdwa v40, v40, v19 dst_sel:DWORD dst_unused:UNUSED_PAD src0_sel:DWORD src1_sel:WORD_1
	v_fma_f16 v19, v64, v19, v40
	v_mul_f16_sdwa v40, v69, v20 dst_sel:DWORD dst_unused:UNUSED_PAD src0_sel:DWORD src1_sel:WORD_1
	v_mul_f16_sdwa v49, v53, v20 dst_sel:DWORD dst_unused:UNUSED_PAD src0_sel:DWORD src1_sel:WORD_1
	v_fma_f16 v40, v53, v20, -v40
	v_fma_f16 v20, v69, v20, v49
	v_mul_f16_sdwa v49, v68, v21 dst_sel:DWORD dst_unused:UNUSED_PAD src0_sel:DWORD src1_sel:WORD_1
	v_mul_f16_sdwa v51, v52, v21 dst_sel:DWORD dst_unused:UNUSED_PAD src0_sel:DWORD src1_sel:WORD_1
	v_fma_f16 v49, v52, v21, -v49
	v_fma_f16 v21, v68, v21, v51
	v_mul_f16_sdwa v51, v70, v22 dst_sel:DWORD dst_unused:UNUSED_PAD src0_sel:DWORD src1_sel:WORD_1
	v_mul_f16_sdwa v52, v56, v22 dst_sel:DWORD dst_unused:UNUSED_PAD src0_sel:DWORD src1_sel:WORD_1
	v_add_f16_e32 v53, v71, v41
	v_fma_f16 v51, v56, v22, -v51
	v_fma_f16 v22, v70, v22, v52
	v_add_f16_e32 v52, v31, v71
	v_fma_f16 v31, v53, -0.5, v31
	v_sub_f16_e32 v53, v7, v8
	v_fma_f16 v54, v53, s4, v31
	v_fma_f16 v31, v53, s5, v31
	v_add_f16_e32 v53, v57, v7
	v_add_f16_e32 v7, v7, v8
	v_add_f16_e32 v53, v53, v8
	v_fma_f16 v7, v7, -0.5, v57
	v_sub_f16_e32 v8, v71, v41
	v_add_f16_e32 v55, v50, v26
	v_add_f16_e32 v52, v52, v41
	v_fma_f16 v41, v8, s5, v7
	v_fma_f16 v7, v8, s4, v7
	v_add_f16_e32 v8, v32, v50
	v_fma_f16 v32, v55, -0.5, v32
	v_sub_f16_e32 v55, v13, v14
	v_fma_f16 v56, v55, s4, v32
	v_fma_f16 v32, v55, s5, v32
	v_add_f16_e32 v55, v58, v13
	v_add_f16_e32 v13, v13, v14
	v_add_f16_e32 v55, v55, v14
	v_fma_f16 v13, v13, -0.5, v58
	v_sub_f16_e32 v14, v50, v26
	v_add_f16_e32 v50, v39, v36
	v_add_f16_e32 v8, v8, v26
	v_fma_f16 v26, v14, s5, v13
	;; [unrolled: 14-line block ×5, first 2 shown]
	v_fma_f16 v19, v20, s4, v19
	v_add_f16_e32 v20, v48, v49
	v_fma_f16 v45, v45, -0.5, v48
	v_sub_f16_e32 v48, v21, v22
	v_fma_f16 v60, v48, s4, v45
	v_fma_f16 v45, v48, s5, v45
	v_add_f16_e32 v48, v66, v21
	v_add_f16_e32 v21, v21, v22
	;; [unrolled: 1-line block ×3, first 2 shown]
	v_fma_f16 v21, v21, -0.5, v66
	v_sub_f16_e32 v22, v49, v51
	v_fma_f16 v49, v22, s5, v21
	v_fma_f16 v21, v22, s4, v21
	v_mul_u32_u24_e32 v22, 0xc6, v23
	v_mul_u32_u24_e32 v23, 0xc6, v25
	v_add3_u32 v22, 0, v22, v24
	v_add3_u32 v23, 0, v23, v37
	ds_write_b16 v22, v52
	ds_write_b16 v22, v54 offset:66
	ds_write_b16 v22, v31 offset:132
	ds_write_b16 v23, v8
	ds_write_b16 v23, v56 offset:66
	ds_write_b16 v23, v32 offset:132
	v_mul_u32_u24_e32 v8, 0xc6, v27
	v_add3_u32 v8, 0, v8, v28
	ds_write_b16 v8, v14
	ds_write_b16 v8, v57 offset:66
	ds_write_b16 v8, v33 offset:132
	v_mul_u32_u24_e32 v14, 0xc6, v42
	v_add3_u32 v14, 0, v14, v29
	;; [unrolled: 5-line block ×3, first 2 shown]
	ds_write_b16 v16, v18
	ds_write_b16 v16, v59 offset:66
	ds_write_b16 v16, v35 offset:132
	v_mul_u32_u24_e32 v18, 0xc6, v46
	v_add_f16_e32 v20, v20, v51
	v_add3_u32 v18, 0, v18, v47
	ds_write_b16 v18, v20
	ds_write_b16 v18, v60 offset:66
	ds_write_b16 v18, v45 offset:132
	s_waitcnt lgkmcnt(0)
	s_barrier
	ds_read_u16 v24, v0 offset:1386
	ds_read_u16 v25, v0 offset:2574
	;; [unrolled: 1-line block ×4, first 2 shown]
	ds_read_u16 v29, v0
	ds_read_u16 v30, v0 offset:198
	ds_read_u16 v31, v0 offset:396
	;; [unrolled: 1-line block ×13, first 2 shown]
	s_waitcnt lgkmcnt(0)
	s_barrier
	ds_write_b16 v22, v53
	ds_write_b16 v22, v41 offset:66
	ds_write_b16 v22, v7 offset:132
	ds_write_b16 v23, v55
	ds_write_b16 v23, v26 offset:66
	ds_write_b16 v23, v13 offset:132
	;; [unrolled: 3-line block ×6, first 2 shown]
	v_lshlrev_b32_e32 v7, 1, v3
	v_mov_b32_e32 v8, 0
	v_lshlrev_b64 v[13:14], 2, v[7:8]
	v_mov_b32_e32 v23, s13
	v_add_co_u32_e32 v13, vcc, s12, v13
	v_addc_co_u32_e32 v14, vcc, v23, v14, vcc
	s_waitcnt lgkmcnt(0)
	s_barrier
	global_load_dwordx2 v[15:16], v[13:14], off offset:352
	v_mul_u32_u24_sdwa v17, v9, s6 dst_sel:DWORD dst_unused:UNUSED_PAD src0_sel:WORD_0 src1_sel:DWORD
	v_lshrrev_b32_e32 v17, 22, v17
	v_mul_lo_u16_e32 v17, 0x63, v17
	v_sub_u16_e32 v26, v9, v17
	v_mul_u32_u24_sdwa v19, v10, s6 dst_sel:DWORD dst_unused:UNUSED_PAD src0_sel:WORD_0 src1_sel:DWORD
	v_lshlrev_b32_e32 v17, 3, v26
	global_load_dwordx2 v[17:18], v17, s[12:13] offset:352
	v_lshrrev_b32_e32 v19, 22, v19
	v_mul_lo_u16_e32 v19, 0x63, v19
	v_sub_u16_e32 v36, v10, v19
	v_lshlrev_b32_e32 v10, 3, v36
	global_load_dwordx2 v[19:20], v10, s[12:13] offset:352
	v_mul_u32_u24_sdwa v10, v11, s6 dst_sel:DWORD dst_unused:UNUSED_PAD src0_sel:WORD_0 src1_sel:DWORD
	v_lshrrev_b32_e32 v10, 22, v10
	v_mul_lo_u16_e32 v10, 0x63, v10
	v_sub_u16_e32 v38, v11, v10
	v_mul_u32_u24_sdwa v21, v12, s6 dst_sel:DWORD dst_unused:UNUSED_PAD src0_sel:WORD_0 src1_sel:DWORD
	v_lshlrev_b32_e32 v10, 3, v38
	v_lshrrev_b32_e32 v21, 22, v21
	global_load_dwordx2 v[10:11], v10, s[12:13] offset:352
	v_mul_lo_u16_e32 v21, 0x63, v21
	v_sub_u16_e32 v12, v12, v21
	v_lshlrev_b32_e32 v21, 3, v12
	global_load_dwordx2 v[21:22], v21, s[12:13] offset:352
	ds_read_u16 v39, v0 offset:1386
	ds_read_u16 v40, v0 offset:2574
	;; [unrolled: 1-line block ×4, first 2 shown]
	ds_read_u16 v48, v0
	ds_read_u16 v49, v0 offset:198
	ds_read_u16 v50, v0 offset:396
	;; [unrolled: 1-line block ×13, first 2 shown]
	s_waitcnt vmcnt(0) lgkmcnt(0)
	s_barrier
	v_lshl_add_u32 v12, v12, 1, 0
	v_mul_f16_sdwa v63, v57, v15 dst_sel:DWORD dst_unused:UNUSED_PAD src0_sel:DWORD src1_sel:WORD_1
	v_fma_f16 v63, v42, v15, -v63
	v_mul_f16_sdwa v42, v42, v15 dst_sel:DWORD dst_unused:UNUSED_PAD src0_sel:DWORD src1_sel:WORD_1
	v_fma_f16 v42, v57, v15, v42
	v_mul_f16_sdwa v57, v59, v16 dst_sel:DWORD dst_unused:UNUSED_PAD src0_sel:DWORD src1_sel:WORD_1
	v_fma_f16 v57, v45, v16, -v57
	v_mul_f16_sdwa v45, v45, v16 dst_sel:DWORD dst_unused:UNUSED_PAD src0_sel:DWORD src1_sel:WORD_1
	v_fma_f16 v45, v59, v16, v45
	;; [unrolled: 4-line block ×9, first 2 shown]
	v_mul_f16_sdwa v37, v61, v11 dst_sel:DWORD dst_unused:UNUSED_PAD src0_sel:DWORD src1_sel:WORD_1
	v_mul_f16_sdwa v39, v47, v11 dst_sel:DWORD dst_unused:UNUSED_PAD src0_sel:DWORD src1_sel:WORD_1
	v_fma_f16 v37, v47, v11, -v37
	v_fma_f16 v11, v61, v11, v39
	v_mul_f16_sdwa v39, v60, v21 dst_sel:DWORD dst_unused:UNUSED_PAD src0_sel:DWORD src1_sel:WORD_1
	v_mul_f16_sdwa v40, v46, v21 dst_sel:DWORD dst_unused:UNUSED_PAD src0_sel:DWORD src1_sel:WORD_1
	v_fma_f16 v39, v46, v21, -v39
	v_fma_f16 v21, v60, v21, v40
	v_mul_f16_sdwa v40, v62, v22 dst_sel:DWORD dst_unused:UNUSED_PAD src0_sel:DWORD src1_sel:WORD_1
	v_mul_f16_sdwa v41, v51, v22 dst_sel:DWORD dst_unused:UNUSED_PAD src0_sel:DWORD src1_sel:WORD_1
	v_add_f16_e32 v43, v63, v57
	v_fma_f16 v40, v51, v22, -v40
	v_fma_f16 v22, v62, v22, v41
	v_add_f16_e32 v41, v29, v63
	v_fma_f16 v29, v43, -0.5, v29
	v_sub_f16_e32 v43, v42, v45
	v_fma_f16 v46, v43, s4, v29
	v_fma_f16 v29, v43, s5, v29
	v_add_f16_e32 v43, v48, v42
	v_add_f16_e32 v42, v42, v45
	;; [unrolled: 1-line block ×3, first 2 shown]
	v_fma_f16 v42, v42, -0.5, v48
	v_sub_f16_e32 v45, v63, v57
	v_add_f16_e32 v48, v59, v24
	v_fma_f16 v47, v45, s5, v42
	v_fma_f16 v42, v45, s4, v42
	v_add_f16_e32 v45, v30, v59
	v_fma_f16 v30, v48, -0.5, v30
	v_sub_f16_e32 v48, v15, v16
	v_fma_f16 v51, v48, s4, v30
	v_fma_f16 v30, v48, s5, v30
	v_add_f16_e32 v48, v49, v15
	v_add_f16_e32 v15, v15, v16
	;; [unrolled: 1-line block ×3, first 2 shown]
	v_fma_f16 v15, v15, -0.5, v49
	v_sub_f16_e32 v16, v59, v24
	v_add_f16_e32 v49, v25, v34
	v_add_f16_e32 v45, v45, v24
	v_fma_f16 v24, v16, s5, v15
	v_fma_f16 v15, v16, s4, v15
	v_add_f16_e32 v16, v31, v25
	v_fma_f16 v31, v49, -0.5, v31
	v_sub_f16_e32 v49, v17, v18
	v_fma_f16 v54, v49, s4, v31
	v_fma_f16 v31, v49, s5, v31
	v_add_f16_e32 v49, v50, v17
	v_add_f16_e32 v17, v17, v18
	v_add_f16_e32 v16, v16, v34
	v_add_f16_e32 v49, v49, v18
	v_fma_f16 v17, v17, -0.5, v50
	v_sub_f16_e32 v18, v25, v34
	v_add_f16_e32 v34, v27, v35
	v_fma_f16 v25, v18, s5, v17
	v_fma_f16 v17, v18, s4, v17
	v_add_f16_e32 v18, v32, v27
	v_fma_f16 v32, v34, -0.5, v32
	v_sub_f16_e32 v34, v19, v20
	v_fma_f16 v50, v34, s4, v32
	v_fma_f16 v32, v34, s5, v32
	v_add_f16_e32 v34, v52, v19
	v_add_f16_e32 v19, v19, v20
	v_add_f16_e32 v18, v18, v35
	v_add_f16_e32 v34, v34, v20
	v_fma_f16 v19, v19, -0.5, v52
	v_sub_f16_e32 v20, v27, v35
	;; [unrolled: 14-line block ×3, first 2 shown]
	v_add_f16_e32 v37, v39, v40
	v_fma_f16 v28, v11, s5, v10
	v_fma_f16 v10, v11, s4, v10
	v_add_f16_e32 v11, v44, v39
	v_fma_f16 v37, v37, -0.5, v44
	v_sub_f16_e32 v44, v21, v22
	v_fma_f16 v53, v44, s4, v37
	v_fma_f16 v37, v44, s5, v37
	v_add_f16_e32 v44, v58, v21
	v_add_f16_e32 v21, v21, v22
	;; [unrolled: 1-line block ×3, first 2 shown]
	v_fma_f16 v21, v21, -0.5, v58
	v_sub_f16_e32 v22, v39, v40
	v_add_f16_e32 v41, v41, v57
	v_fma_f16 v39, v22, s5, v21
	v_fma_f16 v21, v22, s4, v21
	v_lshl_add_u32 v22, v26, 1, 0
	ds_write_b16 v0, v41
	ds_write_b16 v0, v46 offset:198
	ds_write_b16 v0, v29 offset:396
	;; [unrolled: 1-line block ×8, first 2 shown]
	v_lshl_add_u32 v16, v36, 1, 0
	v_add_f16_e32 v11, v11, v40
	ds_write_b16 v16, v18 offset:1782
	ds_write_b16 v16, v50 offset:1980
	;; [unrolled: 1-line block ×3, first 2 shown]
	v_lshl_add_u32 v18, v38, 1, 0
	ds_write_b16 v18, v20 offset:2376
	ds_write_b16 v18, v52 offset:2574
	;; [unrolled: 1-line block ×6, first 2 shown]
	s_waitcnt lgkmcnt(0)
	s_barrier
	ds_read_u16 v20, v0 offset:1386
	ds_read_u16 v26, v0 offset:2574
	;; [unrolled: 1-line block ×4, first 2 shown]
	ds_read_u16 v31, v0
	ds_read_u16 v32, v0 offset:198
	ds_read_u16 v33, v0 offset:396
	;; [unrolled: 1-line block ×13, first 2 shown]
	s_waitcnt lgkmcnt(0)
	s_barrier
	ds_write_b16 v0, v43
	ds_write_b16 v0, v47 offset:198
	ds_write_b16 v0, v42 offset:396
	;; [unrolled: 1-line block ×17, first 2 shown]
	s_waitcnt lgkmcnt(0)
	s_barrier
	global_load_dwordx2 v[10:11], v[13:14], off offset:1144
	v_lshlrev_b32_e32 v12, 1, v4
	v_mov_b32_e32 v13, v8
	v_lshlrev_b64 v[12:13], 2, v[12:13]
	v_lshlrev_b32_e32 v14, 1, v9
	v_add_co_u32_e32 v12, vcc, s12, v12
	v_addc_co_u32_e32 v13, vcc, v23, v13, vcc
	v_mov_b32_e32 v15, v8
	global_load_dwordx2 v[12:13], v[12:13], off offset:1144
	v_lshlrev_b64 v[14:15], 2, v[14:15]
	v_add_co_u32_e32 v14, vcc, s12, v14
	v_addc_co_u32_e32 v15, vcc, v23, v15, vcc
	global_load_dwordx2 v[14:15], v[14:15], off offset:1144
	ds_read_u16 v4, v0 offset:1386
	ds_read_u16 v9, v0 offset:2574
	;; [unrolled: 1-line block ×4, first 2 shown]
	ds_read_u16 v18, v0
	ds_read_u16 v19, v0 offset:198
	ds_read_u16 v21, v0 offset:396
	;; [unrolled: 1-line block ×13, first 2 shown]
	s_waitcnt vmcnt(0) lgkmcnt(0)
	s_barrier
	v_mul_f16_sdwa v44, v28, v10 dst_sel:DWORD dst_unused:UNUSED_PAD src0_sel:DWORD src1_sel:WORD_1
	v_fma_f16 v44, v45, v10, -v44
	v_mul_f16_sdwa v45, v45, v10 dst_sel:DWORD dst_unused:UNUSED_PAD src0_sel:DWORD src1_sel:WORD_1
	v_mul_f16_sdwa v47, v50, v11 dst_sel:DWORD dst_unused:UNUSED_PAD src0_sel:DWORD src1_sel:WORD_1
	v_fma_f16 v28, v28, v10, v45
	v_mul_f16_sdwa v45, v35, v11 dst_sel:DWORD dst_unused:UNUSED_PAD src0_sel:DWORD src1_sel:WORD_1
	v_fma_f16 v35, v35, v11, v47
	v_fma_f16 v45, v50, v11, -v45
	v_mul_f16_sdwa v47, v4, v12 dst_sel:DWORD dst_unused:UNUSED_PAD src0_sel:DWORD src1_sel:WORD_1
	v_fma_f16 v47, v20, v12, -v47
	v_mul_f16_sdwa v20, v20, v12 dst_sel:DWORD dst_unused:UNUSED_PAD src0_sel:DWORD src1_sel:WORD_1
	v_fma_f16 v4, v4, v12, v20
	v_mul_f16_sdwa v20, v9, v13 dst_sel:DWORD dst_unused:UNUSED_PAD src0_sel:DWORD src1_sel:WORD_1
	v_fma_f16 v20, v26, v13, -v20
	v_mul_f16_sdwa v26, v26, v13 dst_sel:DWORD dst_unused:UNUSED_PAD src0_sel:DWORD src1_sel:WORD_1
	v_fma_f16 v9, v9, v13, v26
	;; [unrolled: 4-line block ×6, first 2 shown]
	v_mul_f16_sdwa v17, v27, v12 dst_sel:DWORD dst_unused:UNUSED_PAD src0_sel:DWORD src1_sel:WORD_1
	v_mul_f16_sdwa v30, v41, v12 dst_sel:DWORD dst_unused:UNUSED_PAD src0_sel:DWORD src1_sel:WORD_1
	v_fma_f16 v17, v41, v12, -v17
	v_fma_f16 v12, v27, v12, v30
	v_mul_f16_sdwa v27, v42, v13 dst_sel:DWORD dst_unused:UNUSED_PAD src0_sel:DWORD src1_sel:WORD_1
	v_mul_f16_sdwa v30, v52, v13 dst_sel:DWORD dst_unused:UNUSED_PAD src0_sel:DWORD src1_sel:WORD_1
	v_fma_f16 v27, v52, v13, -v27
	v_fma_f16 v13, v42, v13, v30
	v_mul_f16_sdwa v30, v39, v14 dst_sel:DWORD dst_unused:UNUSED_PAD src0_sel:DWORD src1_sel:WORD_1
	v_mul_f16_sdwa v40, v51, v14 dst_sel:DWORD dst_unused:UNUSED_PAD src0_sel:DWORD src1_sel:WORD_1
	v_fma_f16 v30, v51, v14, -v30
	v_fma_f16 v14, v39, v14, v40
	v_mul_f16_sdwa v39, v43, v15 dst_sel:DWORD dst_unused:UNUSED_PAD src0_sel:DWORD src1_sel:WORD_1
	v_mul_f16_sdwa v40, v53, v15 dst_sel:DWORD dst_unused:UNUSED_PAD src0_sel:DWORD src1_sel:WORD_1
	v_add_f16_e32 v41, v44, v45
	v_fma_f16 v39, v53, v15, -v39
	v_fma_f16 v15, v43, v15, v40
	v_add_f16_e32 v40, v31, v44
	v_fma_f16 v31, v41, -0.5, v31
	v_sub_f16_e32 v41, v28, v35
	v_fma_f16 v42, v41, s4, v31
	v_fma_f16 v31, v41, s5, v31
	v_add_f16_e32 v41, v18, v28
	v_add_f16_e32 v28, v28, v35
	v_fma_f16 v18, v28, -0.5, v18
	v_sub_f16_e32 v28, v44, v45
	v_add_f16_e32 v43, v47, v20
	v_add_f16_e32 v41, v41, v35
	v_fma_f16 v35, v28, s5, v18
	v_fma_f16 v28, v28, s4, v18
	v_add_f16_e32 v18, v32, v47
	v_fma_f16 v32, v43, -0.5, v32
	v_sub_f16_e32 v43, v4, v9
	v_fma_f16 v44, v43, s4, v32
	v_fma_f16 v32, v43, s5, v32
	v_add_f16_e32 v43, v19, v4
	v_add_f16_e32 v4, v4, v9
	v_fma_f16 v4, v4, -0.5, v19
	v_add_f16_e32 v19, v26, v38
	v_add_f16_e32 v18, v18, v20
	;; [unrolled: 1-line block ×3, first 2 shown]
	v_sub_f16_e32 v9, v47, v20
	v_fma_f16 v19, v19, -0.5, v33
	v_sub_f16_e32 v20, v24, v16
	v_add_f16_e32 v40, v40, v45
	v_fma_f16 v45, v9, s5, v4
	v_fma_f16 v4, v9, s4, v4
	v_add_f16_e32 v9, v33, v26
	v_fma_f16 v33, v20, s4, v19
	v_fma_f16 v19, v20, s5, v19
	v_add_f16_e32 v20, v21, v24
	v_add_f16_e32 v47, v20, v16
	v_add_f16_e32 v16, v24, v16
	v_fma_f16 v16, v16, -0.5, v21
	v_sub_f16_e32 v20, v26, v38
	v_add_f16_e32 v9, v9, v38
	v_fma_f16 v38, v20, s5, v16
	v_fma_f16 v48, v20, s4, v16
	v_add_f16_e32 v20, v29, v25
	v_fma_f16 v20, v20, -0.5, v36
	v_sub_f16_e32 v21, v10, v11
	v_fma_f16 v24, v21, s4, v20
	v_fma_f16 v20, v21, s5, v20
	v_add_f16_e32 v21, v22, v10
	v_add_f16_e32 v10, v10, v11
	;; [unrolled: 1-line block ×4, first 2 shown]
	v_fma_f16 v10, v10, -0.5, v22
	v_sub_f16_e32 v11, v29, v25
	v_fma_f16 v29, v11, s5, v10
	v_fma_f16 v49, v11, s4, v10
	v_add_f16_e32 v11, v17, v27
	v_fma_f16 v11, v11, -0.5, v37
	v_sub_f16_e32 v21, v12, v13
	v_fma_f16 v22, v21, s4, v11
	v_fma_f16 v11, v21, s5, v11
	v_add_f16_e32 v21, v23, v12
	v_add_f16_e32 v12, v12, v13
	;; [unrolled: 1-line block ×4, first 2 shown]
	v_fma_f16 v12, v12, -0.5, v23
	v_sub_f16_e32 v13, v17, v27
	v_add_f16_e32 v10, v10, v27
	v_fma_f16 v27, v13, s5, v12
	v_fma_f16 v50, v13, s4, v12
	v_add_f16_e32 v13, v30, v39
	v_fma_f16 v13, v13, -0.5, v46
	v_sub_f16_e32 v17, v14, v15
	v_add_f16_e32 v12, v46, v30
	v_fma_f16 v21, v17, s4, v13
	v_fma_f16 v13, v17, s5, v13
	v_add_f16_e32 v17, v34, v14
	v_add_f16_e32 v14, v14, v15
	;; [unrolled: 1-line block ×5, first 2 shown]
	v_fma_f16 v14, v14, -0.5, v34
	v_sub_f16_e32 v15, v30, v39
	v_add_u32_e32 v26, 0, v7
	v_fma_f16 v30, v15, s5, v14
	v_fma_f16 v34, v15, s4, v14
	ds_write_b16 v0, v40
	ds_write_b16 v0, v42 offset:594
	ds_write_b16 v0, v31 offset:1188
	;; [unrolled: 1-line block ×17, first 2 shown]
	s_waitcnt lgkmcnt(0)
	s_barrier
	ds_read_u16 v9, v0
	ds_read_u16 v11, v0 offset:198
	ds_read_u16 v12, v0 offset:396
	ds_read_u16 v13, v0 offset:594
	ds_read_u16 v15, v0 offset:792
	ds_read_u16 v16, v0 offset:990
	ds_read_u16 v10, v0 offset:1782
	ds_read_u16 v17, v0 offset:1188
	ds_read_u16 v19, v26 offset:1386
	ds_read_u16 v20, v26 offset:1584
	ds_read_u16 v7, v0 offset:1980
	ds_read_u16 v14, v0 offset:2178
	ds_read_u16 v18, v0 offset:2376
	ds_read_u16 v21, v0 offset:2574
	ds_read_u16 v22, v0 offset:2772
	ds_read_u16 v23, v0 offset:2970
	ds_read_u16 v24, v0 offset:3168
	ds_read_u16 v25, v0 offset:3366
	s_waitcnt lgkmcnt(0)
	s_barrier
	ds_write_b16 v0, v41
	ds_write_b16 v0, v35 offset:594
	ds_write_b16 v0, v28 offset:1188
	;; [unrolled: 1-line block ×17, first 2 shown]
	s_waitcnt lgkmcnt(0)
	s_barrier
	s_and_saveexec_b64 s[4:5], s[0:1]
	s_cbranch_execz .LBB0_21
; %bb.20:
	v_mov_b32_e32 v4, v8
	v_lshlrev_b64 v[27:28], 2, v[3:4]
	v_mov_b32_e32 v4, s13
	v_add_co_u32_e32 v27, vcc, s12, v27
	v_addc_co_u32_e32 v28, vcc, v4, v28, vcc
	v_add_co_u32_e32 v29, vcc, 0x1000, v27
	v_addc_co_u32_e32 v30, vcc, 0, v28, vcc
	global_load_dword v31, v[29:30], off offset:2592
	global_load_dword v32, v[29:30], off offset:2196
	;; [unrolled: 1-line block ×7, first 2 shown]
	v_mul_lo_u32 v29, s3, v5
	v_mul_lo_u32 v6, s2, v6
	v_mad_u64_u32 v[4:5], s[0:1], s2, v5, 0
	ds_read_u16 v30, v26 offset:1584
	ds_read_u16 v26, v26 offset:1386
	global_load_dword v38, v[27:28], off offset:3916
	ds_read_u16 v39, v0 offset:3366
	ds_read_u16 v40, v0 offset:3168
	;; [unrolled: 1-line block ×8, first 2 shown]
	v_add3_u32 v5, v5, v6, v29
	global_load_dword v6, v[27:28], off offset:3520
	s_mov_b32 s0, 0x931b4b91
	v_lshlrev_b64 v[4:5], 2, v[4:5]
	s_movk_i32 s1, 0x6f6
	v_add_co_u32_e32 v4, vcc, s10, v4
	s_waitcnt vmcnt(8)
	v_lshrrev_b32_e32 v27, 16, v31
	s_waitcnt lgkmcnt(7)
	v_mul_f16_e32 v28, v31, v39
	v_mul_f16_e32 v39, v27, v39
	v_fma_f16 v27, v25, v27, v28
	v_fma_f16 v25, v25, v31, -v39
	ds_read_u16 v31, v0 offset:1188
	s_waitcnt vmcnt(7)
	v_lshrrev_b32_e32 v29, 16, v32
	s_waitcnt lgkmcnt(7)
	v_mul_f16_e32 v47, v32, v40
	s_waitcnt vmcnt(6)
	v_lshrrev_b32_e32 v48, 16, v33
	s_waitcnt lgkmcnt(6)
	v_mul_f16_e32 v49, v33, v41
	;; [unrolled: 4-line block ×3, first 2 shown]
	s_waitcnt vmcnt(4)
	v_lshrrev_b32_e32 v52, 16, v35
	v_mul_f16_e32 v28, v29, v40
	v_fma_f16 v29, v24, v29, v47
	v_mul_f16_e32 v40, v48, v41
	v_fma_f16 v41, v23, v48, v49
	v_mul_f16_e32 v42, v50, v42
	s_waitcnt lgkmcnt(4)
	v_mul_f16_e32 v53, v35, v43
	v_fma_f16 v47, v22, v50, v51
	v_mul_f16_e32 v43, v52, v43
	v_fma_f16 v24, v24, v32, -v28
	v_sub_f16_e32 v28, v26, v29
	v_fma_f16 v22, v22, v34, -v42
	ds_read_u16 v42, v0 offset:1980
	ds_read_u16 v29, v0 offset:990
	s_waitcnt lgkmcnt(2)
	v_sub_f16_e32 v32, v31, v41
	s_waitcnt vmcnt(2)
	v_lshrrev_b32_e32 v41, 16, v37
	v_fma_f16 v48, v21, v52, v53
	v_fma_f16 v21, v21, v35, -v43
	v_mul_f16_e32 v43, v41, v45
	v_fma_f16 v43, v14, v37, -v43
	v_mul_f16_e32 v37, v37, v45
	v_lshrrev_b32_e32 v54, 16, v36
	v_fma_f16 v23, v23, v33, -v40
	ds_read_u16 v33, v0 offset:792
	ds_read_u16 v35, v0 offset:594
	ds_read_u16 v40, v0 offset:396
	v_fma_f16 v14, v14, v41, v37
	ds_read_u16 v37, v0 offset:198
	v_mul_f16_e32 v55, v36, v44
	v_mul_f16_e32 v44, v54, v44
	s_waitcnt vmcnt(1)
	v_lshrrev_b32_e32 v41, 16, v38
	v_fma_f16 v36, v18, v36, -v44
	s_waitcnt lgkmcnt(5)
	v_mul_f16_e32 v44, v41, v42
	v_fma_f16 v44, v7, v38, -v44
	v_mul_f16_e32 v38, v38, v42
	v_fma_f16 v7, v7, v41, v38
	ds_read_u16 v0, v0
	s_waitcnt lgkmcnt(1)
	v_sub_f16_e32 v38, v37, v7
	s_waitcnt vmcnt(0)
	v_lshrrev_b32_e32 v7, 16, v6
	v_mul_f16_e32 v41, v7, v46
	v_mul_hi_u32 v42, v3, s0
	v_fma_f16 v41, v10, v6, -v41
	v_mul_f16_e32 v6, v6, v46
	v_fma_f16 v6, v10, v7, v6
	s_waitcnt lgkmcnt(0)
	v_sub_f16_e32 v6, v0, v6
	v_fma_f16 v7, v0, 2.0, -v6
	v_lshrrev_b32_e32 v0, 9, v42
	v_mul_u32_u24_e32 v0, 0x37b, v0
	v_sub_u32_e32 v10, v3, v0
	v_mov_b32_e32 v0, s11
	v_addc_co_u32_e32 v5, vcc, v0, v5, vcc
	v_lshlrev_b64 v[0:1], 2, v[1:2]
	v_sub_f16_e32 v41, v9, v41
	v_fma_f16 v9, v9, 2.0, -v41
	v_add_co_u32_e32 v2, vcc, v4, v0
	v_addc_co_u32_e32 v4, vcc, v5, v1, vcc
	v_pack_b32_f16 v5, v9, v7
	v_add_u32_e32 v7, 0x63, v3
	v_lshlrev_b32_e32 v0, 2, v10
	v_mul_hi_u32 v9, v7, s0
	v_add_co_u32_e32 v0, vcc, v2, v0
	v_addc_co_u32_e32 v1, vcc, 0, v4, vcc
	global_store_dword v[0:1], v5, off
	v_pack_b32_f16 v5, v41, v6
	global_store_dword v[0:1], v5, off offset:3564
	v_lshrrev_b32_e32 v0, 9, v9
	v_mul_u32_u24_e32 v1, 0x37b, v0
	v_sub_u32_e32 v1, v7, v1
	v_mad_u32_u24 v7, v0, s1, v1
	v_lshlrev_b64 v[0:1], 2, v[7:8]
	v_sub_f16_e32 v44, v11, v44
	v_fma_f16 v11, v11, 2.0, -v44
	v_fma_f16 v37, v37, 2.0, -v38
	v_add_co_u32_e32 v0, vcc, v2, v0
	v_addc_co_u32_e32 v1, vcc, v4, v1, vcc
	v_pack_b32_f16 v5, v11, v37
	global_store_dword v[0:1], v5, off
	v_add_u32_e32 v7, 0x37b, v7
	v_add_u32_e32 v5, 0xc6, v3
	v_lshlrev_b64 v[0:1], 2, v[7:8]
	v_mul_hi_u32 v6, v5, s0
	v_add_co_u32_e32 v0, vcc, v2, v0
	v_addc_co_u32_e32 v1, vcc, v4, v1, vcc
	v_pack_b32_f16 v7, v44, v38
	global_store_dword v[0:1], v7, off
	v_lshrrev_b32_e32 v0, 9, v6
	v_mul_u32_u24_e32 v1, 0x37b, v0
	v_sub_u32_e32 v1, v5, v1
	v_mad_u32_u24 v7, v0, s1, v1
	v_lshlrev_b64 v[0:1], 2, v[7:8]
	v_sub_f16_e32 v43, v12, v43
	v_sub_f16_e32 v14, v40, v14
	v_fma_f16 v12, v12, 2.0, -v43
	v_fma_f16 v40, v40, 2.0, -v14
	v_add_co_u32_e32 v0, vcc, v2, v0
	v_addc_co_u32_e32 v1, vcc, v4, v1, vcc
	v_pack_b32_f16 v5, v12, v40
	global_store_dword v[0:1], v5, off
	v_add_u32_e32 v7, 0x37b, v7
	v_add_u32_e32 v5, 0x129, v3
	v_lshlrev_b64 v[0:1], 2, v[7:8]
	v_mul_hi_u32 v6, v5, s0
	v_add_co_u32_e32 v0, vcc, v2, v0
	v_addc_co_u32_e32 v1, vcc, v4, v1, vcc
	v_pack_b32_f16 v7, v43, v14
	global_store_dword v[0:1], v7, off
	v_lshrrev_b32_e32 v0, 9, v6
	v_mul_u32_u24_e32 v1, 0x37b, v0
	v_sub_u32_e32 v1, v5, v1
	v_mad_u32_u24 v7, v0, s1, v1
	v_fma_f16 v18, v18, v54, v55
	v_lshlrev_b64 v[0:1], 2, v[7:8]
	v_sub_f16_e32 v36, v13, v36
	v_sub_f16_e32 v18, v35, v18
	v_fma_f16 v13, v13, 2.0, -v36
	v_fma_f16 v35, v35, 2.0, -v18
	v_add_co_u32_e32 v0, vcc, v2, v0
	v_addc_co_u32_e32 v1, vcc, v4, v1, vcc
	v_pack_b32_f16 v5, v13, v35
	global_store_dword v[0:1], v5, off
	v_add_u32_e32 v7, 0x37b, v7
	v_add_u32_e32 v5, 0x18c, v3
	v_lshlrev_b64 v[0:1], 2, v[7:8]
	v_mul_hi_u32 v6, v5, s0
	v_add_co_u32_e32 v0, vcc, v2, v0
	v_addc_co_u32_e32 v1, vcc, v4, v1, vcc
	v_pack_b32_f16 v7, v36, v18
	global_store_dword v[0:1], v7, off
	v_lshrrev_b32_e32 v0, 9, v6
	v_mul_u32_u24_e32 v1, 0x37b, v0
	v_sub_u32_e32 v1, v5, v1
	v_mad_u32_u24 v7, v0, s1, v1
	v_lshlrev_b64 v[0:1], 2, v[7:8]
	v_sub_f16_e32 v39, v33, v48
	v_sub_f16_e32 v21, v15, v21
	v_fma_f16 v33, v33, 2.0, -v39
	v_fma_f16 v15, v15, 2.0, -v21
	v_add_co_u32_e32 v0, vcc, v2, v0
	v_addc_co_u32_e32 v1, vcc, v4, v1, vcc
	v_pack_b32_f16 v5, v15, v33
	global_store_dword v[0:1], v5, off
	v_add_u32_e32 v7, 0x37b, v7
	v_add_u32_e32 v5, 0x1ef, v3
	v_lshlrev_b64 v[0:1], 2, v[7:8]
	v_mul_hi_u32 v6, v5, s0
	v_add_co_u32_e32 v0, vcc, v2, v0
	v_addc_co_u32_e32 v1, vcc, v4, v1, vcc
	v_pack_b32_f16 v7, v21, v39
	global_store_dword v[0:1], v7, off
	v_lshrrev_b32_e32 v0, 9, v6
	v_mul_u32_u24_e32 v1, 0x37b, v0
	v_sub_u32_e32 v1, v5, v1
	v_mad_u32_u24 v7, v0, s1, v1
	;; [unrolled: 21-line block ×3, first 2 shown]
	v_lshlrev_b64 v[0:1], 2, v[7:8]
	v_sub_f16_e32 v23, v17, v23
	v_fma_f16 v31, v31, 2.0, -v32
	v_fma_f16 v17, v17, 2.0, -v23
	v_add_co_u32_e32 v0, vcc, v2, v0
	v_addc_co_u32_e32 v1, vcc, v4, v1, vcc
	v_pack_b32_f16 v5, v17, v31
	global_store_dword v[0:1], v5, off
	v_add_u32_e32 v7, 0x37b, v7
	v_add_u32_e32 v5, 0x2b5, v3
	v_lshlrev_b64 v[0:1], 2, v[7:8]
	v_mul_hi_u32 v6, v5, s0
	v_add_co_u32_e32 v0, vcc, v2, v0
	v_addc_co_u32_e32 v1, vcc, v4, v1, vcc
	v_pack_b32_f16 v7, v23, v32
	global_store_dword v[0:1], v7, off
	v_lshrrev_b32_e32 v0, 9, v6
	v_mul_u32_u24_e32 v1, 0x37b, v0
	v_sub_u32_e32 v1, v5, v1
	v_mad_u32_u24 v7, v0, s1, v1
	v_lshlrev_b64 v[0:1], 2, v[7:8]
	v_sub_f16_e32 v24, v19, v24
	v_fma_f16 v26, v26, 2.0, -v28
	v_fma_f16 v19, v19, 2.0, -v24
	v_add_co_u32_e32 v0, vcc, v2, v0
	v_addc_co_u32_e32 v1, vcc, v4, v1, vcc
	v_pack_b32_f16 v5, v19, v26
	v_add_u32_e32 v7, 0x37b, v7
	v_add_u32_e32 v3, 0x318, v3
	global_store_dword v[0:1], v5, off
	v_lshlrev_b64 v[0:1], 2, v[7:8]
	v_mul_hi_u32 v5, v3, s0
	v_add_co_u32_e32 v0, vcc, v2, v0
	v_addc_co_u32_e32 v1, vcc, v4, v1, vcc
	v_pack_b32_f16 v6, v24, v28
	global_store_dword v[0:1], v6, off
	v_lshrrev_b32_e32 v0, 9, v5
	v_mul_u32_u24_e32 v1, 0x37b, v0
	v_sub_u32_e32 v1, v3, v1
	v_mad_u32_u24 v7, v0, s1, v1
	v_lshlrev_b64 v[0:1], 2, v[7:8]
	v_sub_f16_e32 v27, v30, v27
	v_sub_f16_e32 v25, v20, v25
	v_fma_f16 v30, v30, 2.0, -v27
	v_fma_f16 v20, v20, 2.0, -v25
	v_add_co_u32_e32 v0, vcc, v2, v0
	v_addc_co_u32_e32 v1, vcc, v4, v1, vcc
	v_pack_b32_f16 v3, v20, v30
	v_add_u32_e32 v7, 0x37b, v7
	global_store_dword v[0:1], v3, off
	v_lshlrev_b64 v[0:1], 2, v[7:8]
	v_add_co_u32_e32 v0, vcc, v2, v0
	v_addc_co_u32_e32 v1, vcc, v4, v1, vcc
	v_pack_b32_f16 v2, v25, v27
	global_store_dword v[0:1], v2, off
.LBB0_21:
	s_endpgm
	.section	.rodata,"a",@progbits
	.p2align	6, 0x0
	.amdhsa_kernel fft_rtc_fwd_len1782_factors_11_3_3_3_3_2_wgs_99_tpt_99_halfLds_half_op_CI_CI_unitstride_sbrr_dirReg
		.amdhsa_group_segment_fixed_size 0
		.amdhsa_private_segment_fixed_size 0
		.amdhsa_kernarg_size 104
		.amdhsa_user_sgpr_count 6
		.amdhsa_user_sgpr_private_segment_buffer 1
		.amdhsa_user_sgpr_dispatch_ptr 0
		.amdhsa_user_sgpr_queue_ptr 0
		.amdhsa_user_sgpr_kernarg_segment_ptr 1
		.amdhsa_user_sgpr_dispatch_id 0
		.amdhsa_user_sgpr_flat_scratch_init 0
		.amdhsa_user_sgpr_private_segment_size 0
		.amdhsa_uses_dynamic_stack 0
		.amdhsa_system_sgpr_private_segment_wavefront_offset 0
		.amdhsa_system_sgpr_workgroup_id_x 1
		.amdhsa_system_sgpr_workgroup_id_y 0
		.amdhsa_system_sgpr_workgroup_id_z 0
		.amdhsa_system_sgpr_workgroup_info 0
		.amdhsa_system_vgpr_workitem_id 0
		.amdhsa_next_free_vgpr 86
		.amdhsa_next_free_sgpr 47
		.amdhsa_reserve_vcc 1
		.amdhsa_reserve_flat_scratch 0
		.amdhsa_float_round_mode_32 0
		.amdhsa_float_round_mode_16_64 0
		.amdhsa_float_denorm_mode_32 3
		.amdhsa_float_denorm_mode_16_64 3
		.amdhsa_dx10_clamp 1
		.amdhsa_ieee_mode 1
		.amdhsa_fp16_overflow 0
		.amdhsa_exception_fp_ieee_invalid_op 0
		.amdhsa_exception_fp_denorm_src 0
		.amdhsa_exception_fp_ieee_div_zero 0
		.amdhsa_exception_fp_ieee_overflow 0
		.amdhsa_exception_fp_ieee_underflow 0
		.amdhsa_exception_fp_ieee_inexact 0
		.amdhsa_exception_int_div_zero 0
	.end_amdhsa_kernel
	.text
.Lfunc_end0:
	.size	fft_rtc_fwd_len1782_factors_11_3_3_3_3_2_wgs_99_tpt_99_halfLds_half_op_CI_CI_unitstride_sbrr_dirReg, .Lfunc_end0-fft_rtc_fwd_len1782_factors_11_3_3_3_3_2_wgs_99_tpt_99_halfLds_half_op_CI_CI_unitstride_sbrr_dirReg
                                        ; -- End function
	.section	.AMDGPU.csdata,"",@progbits
; Kernel info:
; codeLenInByte = 14876
; NumSgprs: 51
; NumVgprs: 86
; ScratchSize: 0
; MemoryBound: 0
; FloatMode: 240
; IeeeMode: 1
; LDSByteSize: 0 bytes/workgroup (compile time only)
; SGPRBlocks: 6
; VGPRBlocks: 21
; NumSGPRsForWavesPerEU: 51
; NumVGPRsForWavesPerEU: 86
; Occupancy: 2
; WaveLimiterHint : 1
; COMPUTE_PGM_RSRC2:SCRATCH_EN: 0
; COMPUTE_PGM_RSRC2:USER_SGPR: 6
; COMPUTE_PGM_RSRC2:TRAP_HANDLER: 0
; COMPUTE_PGM_RSRC2:TGID_X_EN: 1
; COMPUTE_PGM_RSRC2:TGID_Y_EN: 0
; COMPUTE_PGM_RSRC2:TGID_Z_EN: 0
; COMPUTE_PGM_RSRC2:TIDIG_COMP_CNT: 0
	.type	__hip_cuid_31d7068723ab2603,@object ; @__hip_cuid_31d7068723ab2603
	.section	.bss,"aw",@nobits
	.globl	__hip_cuid_31d7068723ab2603
__hip_cuid_31d7068723ab2603:
	.byte	0                               ; 0x0
	.size	__hip_cuid_31d7068723ab2603, 1

	.ident	"AMD clang version 19.0.0git (https://github.com/RadeonOpenCompute/llvm-project roc-6.4.0 25133 c7fe45cf4b819c5991fe208aaa96edf142730f1d)"
	.section	".note.GNU-stack","",@progbits
	.addrsig
	.addrsig_sym __hip_cuid_31d7068723ab2603
	.amdgpu_metadata
---
amdhsa.kernels:
  - .args:
      - .actual_access:  read_only
        .address_space:  global
        .offset:         0
        .size:           8
        .value_kind:     global_buffer
      - .offset:         8
        .size:           8
        .value_kind:     by_value
      - .actual_access:  read_only
        .address_space:  global
        .offset:         16
        .size:           8
        .value_kind:     global_buffer
      - .actual_access:  read_only
        .address_space:  global
        .offset:         24
        .size:           8
        .value_kind:     global_buffer
      - .actual_access:  read_only
        .address_space:  global
        .offset:         32
        .size:           8
        .value_kind:     global_buffer
      - .offset:         40
        .size:           8
        .value_kind:     by_value
      - .actual_access:  read_only
        .address_space:  global
        .offset:         48
        .size:           8
        .value_kind:     global_buffer
      - .actual_access:  read_only
        .address_space:  global
        .offset:         56
        .size:           8
        .value_kind:     global_buffer
      - .offset:         64
        .size:           4
        .value_kind:     by_value
      - .actual_access:  read_only
        .address_space:  global
        .offset:         72
        .size:           8
        .value_kind:     global_buffer
      - .actual_access:  read_only
        .address_space:  global
        .offset:         80
        .size:           8
        .value_kind:     global_buffer
      - .actual_access:  read_only
        .address_space:  global
        .offset:         88
        .size:           8
        .value_kind:     global_buffer
      - .actual_access:  write_only
        .address_space:  global
        .offset:         96
        .size:           8
        .value_kind:     global_buffer
    .group_segment_fixed_size: 0
    .kernarg_segment_align: 8
    .kernarg_segment_size: 104
    .language:       OpenCL C
    .language_version:
      - 2
      - 0
    .max_flat_workgroup_size: 99
    .name:           fft_rtc_fwd_len1782_factors_11_3_3_3_3_2_wgs_99_tpt_99_halfLds_half_op_CI_CI_unitstride_sbrr_dirReg
    .private_segment_fixed_size: 0
    .sgpr_count:     51
    .sgpr_spill_count: 0
    .symbol:         fft_rtc_fwd_len1782_factors_11_3_3_3_3_2_wgs_99_tpt_99_halfLds_half_op_CI_CI_unitstride_sbrr_dirReg.kd
    .uniform_work_group_size: 1
    .uses_dynamic_stack: false
    .vgpr_count:     86
    .vgpr_spill_count: 0
    .wavefront_size: 64
amdhsa.target:   amdgcn-amd-amdhsa--gfx906
amdhsa.version:
  - 1
  - 2
...

	.end_amdgpu_metadata
